;; amdgpu-corpus repo=ROCm/rocFFT kind=compiled arch=gfx906 opt=O3
	.text
	.amdgcn_target "amdgcn-amd-amdhsa--gfx906"
	.amdhsa_code_object_version 6
	.protected	fft_rtc_fwd_len924_factors_2_2_3_7_11_wgs_44_tpt_44_halfLds_dp_op_CI_CI_unitstride_sbrr_R2C_dirReg ; -- Begin function fft_rtc_fwd_len924_factors_2_2_3_7_11_wgs_44_tpt_44_halfLds_dp_op_CI_CI_unitstride_sbrr_R2C_dirReg
	.globl	fft_rtc_fwd_len924_factors_2_2_3_7_11_wgs_44_tpt_44_halfLds_dp_op_CI_CI_unitstride_sbrr_R2C_dirReg
	.p2align	8
	.type	fft_rtc_fwd_len924_factors_2_2_3_7_11_wgs_44_tpt_44_halfLds_dp_op_CI_CI_unitstride_sbrr_R2C_dirReg,@function
fft_rtc_fwd_len924_factors_2_2_3_7_11_wgs_44_tpt_44_halfLds_dp_op_CI_CI_unitstride_sbrr_R2C_dirReg: ; @fft_rtc_fwd_len924_factors_2_2_3_7_11_wgs_44_tpt_44_halfLds_dp_op_CI_CI_unitstride_sbrr_R2C_dirReg
; %bb.0:
	s_load_dwordx4 s[8:11], s[4:5], 0x58
	s_load_dwordx4 s[12:15], s[4:5], 0x0
	;; [unrolled: 1-line block ×3, first 2 shown]
	v_mul_u32_u24_e32 v1, 0x5d2, v0
	v_add_u32_sdwa v5, s6, v1 dst_sel:DWORD dst_unused:UNUSED_PAD src0_sel:DWORD src1_sel:WORD_1
	v_mov_b32_e32 v3, 0
	s_waitcnt lgkmcnt(0)
	v_cmp_lt_u64_e64 s[0:1], s[14:15], 2
	v_mov_b32_e32 v1, 0
	v_mov_b32_e32 v6, v3
	s_and_b64 vcc, exec, s[0:1]
	v_mov_b32_e32 v2, 0
	s_cbranch_vccnz .LBB0_8
; %bb.1:
	s_load_dwordx2 s[0:1], s[4:5], 0x10
	s_add_u32 s2, s18, 8
	s_addc_u32 s3, s19, 0
	s_add_u32 s6, s16, 8
	v_mov_b32_e32 v1, 0
	s_addc_u32 s7, s17, 0
	v_mov_b32_e32 v2, 0
	s_waitcnt lgkmcnt(0)
	s_add_u32 s20, s0, 8
	v_mov_b32_e32 v89, v2
	s_addc_u32 s21, s1, 0
	s_mov_b64 s[22:23], 1
	v_mov_b32_e32 v88, v1
.LBB0_2:                                ; =>This Inner Loop Header: Depth=1
	s_load_dwordx2 s[24:25], s[20:21], 0x0
                                        ; implicit-def: $vgpr92_vgpr93
	s_waitcnt lgkmcnt(0)
	v_or_b32_e32 v4, s25, v6
	v_cmp_ne_u64_e32 vcc, 0, v[3:4]
	s_and_saveexec_b64 s[0:1], vcc
	s_xor_b64 s[26:27], exec, s[0:1]
	s_cbranch_execz .LBB0_4
; %bb.3:                                ;   in Loop: Header=BB0_2 Depth=1
	v_cvt_f32_u32_e32 v4, s24
	v_cvt_f32_u32_e32 v7, s25
	s_sub_u32 s0, 0, s24
	s_subb_u32 s1, 0, s25
	v_mac_f32_e32 v4, 0x4f800000, v7
	v_rcp_f32_e32 v4, v4
	v_mul_f32_e32 v4, 0x5f7ffffc, v4
	v_mul_f32_e32 v7, 0x2f800000, v4
	v_trunc_f32_e32 v7, v7
	v_mac_f32_e32 v4, 0xcf800000, v7
	v_cvt_u32_f32_e32 v7, v7
	v_cvt_u32_f32_e32 v4, v4
	v_mul_lo_u32 v8, s0, v7
	v_mul_hi_u32 v9, s0, v4
	v_mul_lo_u32 v11, s1, v4
	v_mul_lo_u32 v10, s0, v4
	v_add_u32_e32 v8, v9, v8
	v_add_u32_e32 v8, v8, v11
	v_mul_hi_u32 v9, v4, v10
	v_mul_lo_u32 v11, v4, v8
	v_mul_hi_u32 v13, v4, v8
	v_mul_hi_u32 v12, v7, v10
	v_mul_lo_u32 v10, v7, v10
	v_mul_hi_u32 v14, v7, v8
	v_add_co_u32_e32 v9, vcc, v9, v11
	v_addc_co_u32_e32 v11, vcc, 0, v13, vcc
	v_mul_lo_u32 v8, v7, v8
	v_add_co_u32_e32 v9, vcc, v9, v10
	v_addc_co_u32_e32 v9, vcc, v11, v12, vcc
	v_addc_co_u32_e32 v10, vcc, 0, v14, vcc
	v_add_co_u32_e32 v8, vcc, v9, v8
	v_addc_co_u32_e32 v9, vcc, 0, v10, vcc
	v_add_co_u32_e32 v4, vcc, v4, v8
	v_addc_co_u32_e32 v7, vcc, v7, v9, vcc
	v_mul_lo_u32 v8, s0, v7
	v_mul_hi_u32 v9, s0, v4
	v_mul_lo_u32 v10, s1, v4
	v_mul_lo_u32 v11, s0, v4
	v_add_u32_e32 v8, v9, v8
	v_add_u32_e32 v8, v8, v10
	v_mul_lo_u32 v12, v4, v8
	v_mul_hi_u32 v13, v4, v11
	v_mul_hi_u32 v14, v4, v8
	v_mul_hi_u32 v10, v7, v11
	v_mul_lo_u32 v11, v7, v11
	v_mul_hi_u32 v9, v7, v8
	v_add_co_u32_e32 v12, vcc, v13, v12
	v_addc_co_u32_e32 v13, vcc, 0, v14, vcc
	v_mul_lo_u32 v8, v7, v8
	v_add_co_u32_e32 v11, vcc, v12, v11
	v_addc_co_u32_e32 v10, vcc, v13, v10, vcc
	v_addc_co_u32_e32 v9, vcc, 0, v9, vcc
	v_add_co_u32_e32 v8, vcc, v10, v8
	v_addc_co_u32_e32 v9, vcc, 0, v9, vcc
	v_add_co_u32_e32 v4, vcc, v4, v8
	v_addc_co_u32_e32 v9, vcc, v7, v9, vcc
	v_mad_u64_u32 v[7:8], s[0:1], v5, v9, 0
	v_mul_hi_u32 v10, v5, v4
	v_add_co_u32_e32 v11, vcc, v10, v7
	v_addc_co_u32_e32 v12, vcc, 0, v8, vcc
	v_mad_u64_u32 v[7:8], s[0:1], v6, v4, 0
	v_mad_u64_u32 v[9:10], s[0:1], v6, v9, 0
	v_add_co_u32_e32 v4, vcc, v11, v7
	v_addc_co_u32_e32 v4, vcc, v12, v8, vcc
	v_addc_co_u32_e32 v7, vcc, 0, v10, vcc
	v_add_co_u32_e32 v4, vcc, v4, v9
	v_addc_co_u32_e32 v9, vcc, 0, v7, vcc
	v_mul_lo_u32 v10, s25, v4
	v_mul_lo_u32 v11, s24, v9
	v_mad_u64_u32 v[7:8], s[0:1], s24, v4, 0
	v_add3_u32 v8, v8, v11, v10
	v_sub_u32_e32 v10, v6, v8
	v_mov_b32_e32 v11, s25
	v_sub_co_u32_e32 v7, vcc, v5, v7
	v_subb_co_u32_e64 v10, s[0:1], v10, v11, vcc
	v_subrev_co_u32_e64 v11, s[0:1], s24, v7
	v_subbrev_co_u32_e64 v10, s[0:1], 0, v10, s[0:1]
	v_cmp_le_u32_e64 s[0:1], s25, v10
	v_cndmask_b32_e64 v12, 0, -1, s[0:1]
	v_cmp_le_u32_e64 s[0:1], s24, v11
	v_cndmask_b32_e64 v11, 0, -1, s[0:1]
	v_cmp_eq_u32_e64 s[0:1], s25, v10
	v_cndmask_b32_e64 v10, v12, v11, s[0:1]
	v_add_co_u32_e64 v11, s[0:1], 2, v4
	v_addc_co_u32_e64 v12, s[0:1], 0, v9, s[0:1]
	v_add_co_u32_e64 v13, s[0:1], 1, v4
	v_addc_co_u32_e64 v14, s[0:1], 0, v9, s[0:1]
	v_subb_co_u32_e32 v8, vcc, v6, v8, vcc
	v_cmp_ne_u32_e64 s[0:1], 0, v10
	v_cmp_le_u32_e32 vcc, s25, v8
	v_cndmask_b32_e64 v10, v14, v12, s[0:1]
	v_cndmask_b32_e64 v12, 0, -1, vcc
	v_cmp_le_u32_e32 vcc, s24, v7
	v_cndmask_b32_e64 v7, 0, -1, vcc
	v_cmp_eq_u32_e32 vcc, s25, v8
	v_cndmask_b32_e32 v7, v12, v7, vcc
	v_cmp_ne_u32_e32 vcc, 0, v7
	v_cndmask_b32_e64 v7, v13, v11, s[0:1]
	v_cndmask_b32_e32 v93, v9, v10, vcc
	v_cndmask_b32_e32 v92, v4, v7, vcc
.LBB0_4:                                ;   in Loop: Header=BB0_2 Depth=1
	s_andn2_saveexec_b64 s[0:1], s[26:27]
	s_cbranch_execz .LBB0_6
; %bb.5:                                ;   in Loop: Header=BB0_2 Depth=1
	v_cvt_f32_u32_e32 v4, s24
	s_sub_i32 s26, 0, s24
	v_mov_b32_e32 v93, v3
	v_rcp_iflag_f32_e32 v4, v4
	v_mul_f32_e32 v4, 0x4f7ffffe, v4
	v_cvt_u32_f32_e32 v4, v4
	v_mul_lo_u32 v7, s26, v4
	v_mul_hi_u32 v7, v4, v7
	v_add_u32_e32 v4, v4, v7
	v_mul_hi_u32 v4, v5, v4
	v_mul_lo_u32 v7, v4, s24
	v_add_u32_e32 v8, 1, v4
	v_sub_u32_e32 v7, v5, v7
	v_subrev_u32_e32 v9, s24, v7
	v_cmp_le_u32_e32 vcc, s24, v7
	v_cndmask_b32_e32 v7, v7, v9, vcc
	v_cndmask_b32_e32 v4, v4, v8, vcc
	v_add_u32_e32 v8, 1, v4
	v_cmp_le_u32_e32 vcc, s24, v7
	v_cndmask_b32_e32 v92, v4, v8, vcc
.LBB0_6:                                ;   in Loop: Header=BB0_2 Depth=1
	s_or_b64 exec, exec, s[0:1]
	v_mul_lo_u32 v4, v93, s24
	v_mul_lo_u32 v9, v92, s25
	v_mad_u64_u32 v[7:8], s[0:1], v92, s24, 0
	s_load_dwordx2 s[0:1], s[6:7], 0x0
	s_load_dwordx2 s[24:25], s[2:3], 0x0
	v_add3_u32 v4, v8, v9, v4
	v_sub_co_u32_e32 v5, vcc, v5, v7
	v_subb_co_u32_e32 v4, vcc, v6, v4, vcc
	s_waitcnt lgkmcnt(0)
	v_mul_lo_u32 v6, s0, v4
	v_mul_lo_u32 v7, s1, v5
	v_mad_u64_u32 v[1:2], s[0:1], s0, v5, v[1:2]
	v_mul_lo_u32 v4, s24, v4
	v_mul_lo_u32 v8, s25, v5
	v_mad_u64_u32 v[88:89], s[0:1], s24, v5, v[88:89]
	s_add_u32 s22, s22, 1
	s_addc_u32 s23, s23, 0
	s_add_u32 s2, s2, 8
	v_add3_u32 v89, v8, v89, v4
	s_addc_u32 s3, s3, 0
	v_mov_b32_e32 v4, s14
	s_add_u32 s6, s6, 8
	v_mov_b32_e32 v5, s15
	s_addc_u32 s7, s7, 0
	v_cmp_ge_u64_e32 vcc, s[22:23], v[4:5]
	s_add_u32 s20, s20, 8
	v_add3_u32 v2, v7, v2, v6
	s_addc_u32 s21, s21, 0
	s_cbranch_vccnz .LBB0_9
; %bb.7:                                ;   in Loop: Header=BB0_2 Depth=1
	v_mov_b32_e32 v5, v92
	v_mov_b32_e32 v6, v93
	s_branch .LBB0_2
.LBB0_8:
	v_mov_b32_e32 v89, v2
	v_mov_b32_e32 v93, v6
	;; [unrolled: 1-line block ×4, first 2 shown]
.LBB0_9:
	s_load_dwordx2 s[4:5], s[4:5], 0x28
	s_lshl_b64 s[6:7], s[14:15], 3
	s_add_u32 s2, s18, s6
	s_addc_u32 s3, s19, s7
                                        ; implicit-def: $vgpr90
                                        ; implicit-def: $vgpr94
                                        ; implicit-def: $vgpr104
                                        ; implicit-def: $vgpr103
                                        ; implicit-def: $vgpr102
                                        ; implicit-def: $vgpr101
                                        ; implicit-def: $vgpr100
                                        ; implicit-def: $vgpr99
                                        ; implicit-def: $vgpr98
                                        ; implicit-def: $vgpr97
                                        ; implicit-def: $vgpr96
	s_waitcnt lgkmcnt(0)
	v_cmp_gt_u64_e64 s[0:1], s[4:5], v[92:93]
	v_cmp_le_u64_e32 vcc, s[4:5], v[92:93]
	s_and_saveexec_b64 s[4:5], vcc
	s_xor_b64 s[4:5], exec, s[4:5]
	s_cbranch_execz .LBB0_11
; %bb.10:
	s_mov_b32 s14, 0x5d1745e
	v_mul_hi_u32 v1, v0, s14
	v_mul_u32_u24_e32 v1, 44, v1
	v_sub_u32_e32 v90, v0, v1
	v_add_u32_e32 v94, 44, v90
	v_add_u32_e32 v104, 0x58, v90
	;; [unrolled: 1-line block ×10, first 2 shown]
                                        ; implicit-def: $vgpr0
                                        ; implicit-def: $vgpr1_vgpr2
.LBB0_11:
	s_andn2_saveexec_b64 s[4:5], s[4:5]
	s_cbranch_execz .LBB0_13
; %bb.12:
	s_add_u32 s6, s16, s6
	s_addc_u32 s7, s17, s7
	s_load_dwordx2 s[6:7], s[6:7], 0x0
	s_mov_b32 s14, 0x5d1745e
	v_mul_hi_u32 v5, v0, s14
	s_waitcnt lgkmcnt(0)
	v_mul_lo_u32 v6, s7, v92
	v_mul_lo_u32 v7, s6, v93
	v_mad_u64_u32 v[3:4], s[6:7], s6, v92, 0
	v_mul_u32_u24_e32 v5, 44, v5
	v_sub_u32_e32 v90, v0, v5
	v_add3_u32 v4, v4, v7, v6
	v_lshlrev_b64 v[3:4], 4, v[3:4]
	v_mov_b32_e32 v0, s9
	v_add_co_u32_e32 v3, vcc, s8, v3
	v_addc_co_u32_e32 v4, vcc, v0, v4, vcc
	v_lshlrev_b64 v[0:1], 4, v[1:2]
	v_lshlrev_b32_e32 v86, 4, v90
	v_add_co_u32_e32 v24, vcc, v3, v0
	v_addc_co_u32_e32 v25, vcc, v4, v1, vcc
	v_add_co_u32_e32 v71, vcc, v24, v86
	v_addc_co_u32_e32 v72, vcc, 0, v25, vcc
	v_or_b32_e32 v26, 0x2c00, v86
	v_add_co_u32_e32 v64, vcc, v24, v26
	v_addc_co_u32_e32 v65, vcc, 0, v25, vcc
	s_movk_i32 s6, 0x1000
	v_add_co_u32_e32 v66, vcc, s6, v71
	s_movk_i32 s7, 0x2000
	v_addc_co_u32_e32 v67, vcc, 0, v72, vcc
	v_add_co_u32_e32 v73, vcc, s7, v71
	v_addc_co_u32_e32 v74, vcc, 0, v72, vcc
	v_add_co_u32_e32 v84, vcc, 0x3000, v71
	v_addc_co_u32_e32 v85, vcc, 0, v72, vcc
	global_load_dwordx4 v[0:3], v[71:72], off
	global_load_dwordx4 v[4:7], v[71:72], off offset:704
	global_load_dwordx4 v[8:11], v[71:72], off offset:1408
	;; [unrolled: 1-line block ×5, first 2 shown]
	global_load_dwordx4 v[24:27], v[64:65], off
	global_load_dwordx4 v[28:31], v[73:74], off offset:3776
	global_load_dwordx4 v[32:35], v[66:67], off offset:128
	;; [unrolled: 1-line block ×9, first 2 shown]
	s_nop 0
	global_load_dwordx4 v[64:67], v[73:74], off offset:1664
	global_load_dwordx4 v[68:71], v[73:74], off offset:2368
	s_nop 0
	global_load_dwordx4 v[72:75], v[84:85], off offset:384
	global_load_dwordx4 v[76:79], v[84:85], off offset:1088
	;; [unrolled: 1-line block ×3, first 2 shown]
	v_add_u32_e32 v94, 44, v90
	v_add_u32_e32 v104, 0x58, v90
	;; [unrolled: 1-line block ×11, first 2 shown]
	s_waitcnt vmcnt(20)
	ds_write_b128 v84, v[0:3]
	s_waitcnt vmcnt(19)
	ds_write_b128 v84, v[4:7] offset:704
	s_waitcnt vmcnt(18)
	ds_write_b128 v84, v[8:11] offset:1408
	s_waitcnt vmcnt(17)
	ds_write_b128 v84, v[12:15] offset:2112
	s_waitcnt vmcnt(16)
	ds_write_b128 v84, v[16:19] offset:2816
	s_waitcnt vmcnt(15)
	ds_write_b128 v84, v[20:23] offset:3520
	s_waitcnt vmcnt(14)
	ds_write_b128 v84, v[24:27] offset:11264
	s_waitcnt vmcnt(12)
	ds_write_b128 v84, v[32:35] offset:4224
	s_waitcnt vmcnt(11)
	ds_write_b128 v84, v[36:39] offset:4928
	s_waitcnt vmcnt(10)
	ds_write_b128 v84, v[40:43] offset:5632
	s_waitcnt vmcnt(9)
	ds_write_b128 v84, v[44:47] offset:6336
	s_waitcnt vmcnt(8)
	ds_write_b128 v84, v[48:51] offset:7040
	s_waitcnt vmcnt(7)
	ds_write_b128 v84, v[52:55] offset:7744
	s_waitcnt vmcnt(6)
	ds_write_b128 v84, v[56:59] offset:8448
	s_waitcnt vmcnt(5)
	ds_write_b128 v84, v[60:63] offset:9152
	s_waitcnt vmcnt(4)
	ds_write_b128 v84, v[64:67] offset:9856
	s_waitcnt vmcnt(3)
	ds_write_b128 v84, v[68:71] offset:10560
	ds_write_b128 v84, v[28:31] offset:11968
	s_waitcnt vmcnt(2)
	ds_write_b128 v84, v[72:75] offset:12672
	s_waitcnt vmcnt(1)
	;; [unrolled: 2-line block ×3, first 2 shown]
	ds_write_b128 v84, v[80:83] offset:14080
.LBB0_13:
	s_or_b64 exec, exec, s[4:5]
	v_lshlrev_b32_e32 v91, 4, v90
	v_add_u32_e32 v108, 0, v91
	s_load_dwordx2 s[4:5], s[2:3], 0x0
	s_waitcnt lgkmcnt(0)
	; wave barrier
	s_waitcnt lgkmcnt(0)
	ds_read_b128 v[0:3], v108 offset:7392
	ds_read_b128 v[4:7], v108
	ds_read_b128 v[8:11], v108 offset:704
	ds_read_b128 v[12:15], v108 offset:7040
	;; [unrolled: 1-line block ×16, first 2 shown]
	s_waitcnt lgkmcnt(14)
	v_add_f64 v[0:1], v[4:5], -v[0:1]
	v_add_f64 v[2:3], v[6:7], -v[2:3]
	s_waitcnt lgkmcnt(13)
	v_add_f64 v[16:17], v[8:9], -v[16:17]
	v_add_f64 v[18:19], v[10:11], -v[18:19]
	;; [unrolled: 3-line block ×3, first 2 shown]
	v_add_u32_e32 v95, v108, v91
	ds_read_b128 v[72:75], v108 offset:5632
	ds_read_b128 v[76:79], v108 offset:6336
	v_fma_f64 v[4:5], v[4:5], 2.0, -v[0:1]
	v_fma_f64 v[6:7], v[6:7], 2.0, -v[2:3]
	;; [unrolled: 1-line block ×4, first 2 shown]
	ds_read_b128 v[80:83], v108 offset:13728
	ds_read_b128 v[84:87], v108 offset:14432
	s_waitcnt lgkmcnt(0)
	; wave barrier
	s_waitcnt lgkmcnt(0)
	v_add_f64 v[32:33], v[28:29], -v[32:33]
	ds_write_b128 v95, v[4:7]
	ds_write_b128 v95, v[0:3] offset:16
	v_add_f64 v[34:35], v[30:31], -v[34:35]
	v_lshl_add_u32 v95, v94, 5, 0
	v_fma_f64 v[0:1], v[24:25], 2.0, -v[20:21]
	v_fma_f64 v[2:3], v[26:27], 2.0, -v[22:23]
	ds_write_b128 v95, v[8:11]
	v_add_f64 v[8:9], v[40:41], -v[36:37]
	v_add_f64 v[10:11], v[42:43], -v[38:39]
	v_fma_f64 v[4:5], v[28:29], 2.0, -v[32:33]
	v_fma_f64 v[6:7], v[30:31], 2.0, -v[34:35]
	ds_write_b128 v95, v[16:19] offset:16
	v_lshl_add_u32 v16, v104, 5, 0
	ds_write_b128 v16, v[0:3]
	ds_write_b128 v16, v[20:23] offset:16
	v_lshl_add_u32 v24, v103, 5, 0
	v_fma_f64 v[0:1], v[40:41], 2.0, -v[8:9]
	v_fma_f64 v[2:3], v[42:43], 2.0, -v[10:11]
	v_add_f64 v[16:17], v[44:45], -v[48:49]
	ds_write_b128 v24, v[4:7]
	v_lshl_add_u32 v4, v102, 5, 0
	v_add_f64 v[18:19], v[46:47], -v[50:51]
	v_add_f64 v[20:21], v[56:57], -v[52:53]
	;; [unrolled: 1-line block ×3, first 2 shown]
	ds_write_b128 v24, v[32:35] offset:16
	ds_write_b128 v4, v[0:3]
	ds_write_b128 v4, v[8:11] offset:16
	v_add_f64 v[28:29], v[60:61], -v[64:65]
	v_add_f64 v[30:31], v[62:63], -v[66:67]
	;; [unrolled: 1-line block ×8, first 2 shown]
	v_fma_f64 v[8:9], v[44:45], 2.0, -v[16:17]
	v_fma_f64 v[10:11], v[46:47], 2.0, -v[18:19]
	;; [unrolled: 1-line block ×12, first 2 shown]
	v_lshl_add_u32 v114, v101, 5, 0
	v_lshl_add_u32 v117, v100, 5, 0
	;; [unrolled: 1-line block ×5, first 2 shown]
	v_cmp_gt_u32_e32 vcc, 22, v90
	ds_write_b128 v114, v[8:11]
	ds_write_b128 v114, v[16:19] offset:16
	ds_write_b128 v117, v[24:27]
	ds_write_b128 v117, v[20:23] offset:16
	;; [unrolled: 2-line block ×5, first 2 shown]
	s_and_saveexec_b64 s[2:3], vcc
	s_cbranch_execz .LBB0_15
; %bb.14:
	v_lshl_add_u32 v8, v96, 5, 0
	ds_write_b128 v8, v[4:7]
	ds_write_b128 v8, v[0:3] offset:16
.LBB0_15:
	s_or_b64 exec, exec, s[2:3]
	v_lshlrev_b32_e32 v115, 4, v101
	v_lshlrev_b32_e32 v116, 4, v100
	;; [unrolled: 1-line block ×5, first 2 shown]
	v_lshl_add_u32 v111, v104, 4, 0
	v_lshl_add_u32 v109, v102, 4, 0
	v_sub_u32_e32 v20, v114, v115
	v_sub_u32_e32 v28, v117, v116
	;; [unrolled: 1-line block ×5, first 2 shown]
	s_waitcnt lgkmcnt(0)
	; wave barrier
	s_waitcnt lgkmcnt(0)
	ds_read_b128 v[8:11], v108
	ds_read_b128 v[44:47], v108 offset:7392
	v_lshl_add_u32 v112, v94, 4, 0
	ds_read_b128 v[52:55], v108 offset:8096
	ds_read_b128 v[56:59], v108 offset:8800
	v_lshl_add_u32 v110, v103, 4, 0
	ds_read_b128 v[16:19], v111
	ds_read_b128 v[12:15], v110
	ds_read_b128 v[60:63], v108 offset:9504
	ds_read_b128 v[64:67], v108 offset:10208
	ds_read_b128 v[24:27], v109
	ds_read_b128 v[20:23], v20
	ds_read_b128 v[68:71], v108 offset:10912
	ds_read_b128 v[72:75], v108 offset:11616
	;; [unrolled: 4-line block ×3, first 2 shown]
	ds_read_b128 v[40:43], v36
	ds_read_b128 v[36:39], v37
	;; [unrolled: 1-line block ×3, first 2 shown]
	ds_read_b128 v[84:87], v108 offset:13728
	v_lshlrev_b32_e32 v127, 1, v94
	v_lshlrev_b32_e32 v128, 1, v104
	;; [unrolled: 1-line block ×9, first 2 shown]
	v_lshl_add_u32 v106, v96, 4, 0
	s_and_saveexec_b64 s[2:3], vcc
	s_cbranch_execz .LBB0_17
; %bb.16:
	ds_read_b128 v[4:7], v106
	ds_read_b128 v[0:3], v108 offset:14432
.LBB0_17:
	s_or_b64 exec, exec, s[2:3]
	v_and_b32_e32 v129, 1, v90
	v_lshlrev_b32_e32 v118, 4, v129
	global_load_dwordx4 v[131:134], v118, s[12:13]
	s_movk_i32 s3, 0xfc
	s_movk_i32 s6, 0x1fc
	v_and_or_b32 v127, v127, s3, v129
	v_and_or_b32 v126, v126, s6, v129
	v_lshl_add_u32 v175, v127, 4, 0
	v_lshl_add_u32 v176, v126, 4, 0
	v_sub_u32_e32 v118, 0, v116
	v_sub_u32_e32 v116, 0, v130
	v_lshlrev_b32_e32 v130, 1, v90
	s_movk_i32 s2, 0x7c
	v_and_or_b32 v130, v130, s2, v129
	v_and_or_b32 v128, v128, s6, v129
	v_lshl_add_u32 v130, v130, 4, 0
	s_waitcnt lgkmcnt(0)
	; wave barrier
	s_waitcnt lgkmcnt(0)
	v_lshl_add_u32 v128, v128, 4, 0
	s_movk_i32 s2, 0x2fc
	v_sub_u32_e32 v115, 0, v115
	v_sub_u32_e32 v119, 0, v119
	s_waitcnt vmcnt(0)
	v_mul_f64 v[126:127], v[46:47], v[133:134]
	v_mul_f64 v[135:136], v[44:45], v[133:134]
	;; [unrolled: 1-line block ×16, first 2 shown]
	v_fma_f64 v[44:45], v[44:45], v[131:132], -v[126:127]
	v_fma_f64 v[46:47], v[46:47], v[131:132], v[135:136]
	v_mul_f64 v[165:166], v[82:83], v[133:134]
	v_mul_f64 v[167:168], v[80:81], v[133:134]
	v_fma_f64 v[52:53], v[52:53], v[131:132], -v[137:138]
	v_fma_f64 v[54:55], v[54:55], v[131:132], v[139:140]
	v_fma_f64 v[64:65], v[64:65], v[131:132], -v[149:150]
	v_fma_f64 v[66:67], v[66:67], v[131:132], v[151:152]
	v_mul_f64 v[169:170], v[86:87], v[133:134]
	v_mul_f64 v[171:172], v[84:85], v[133:134]
	v_fma_f64 v[56:57], v[56:57], v[131:132], -v[141:142]
	v_fma_f64 v[58:59], v[58:59], v[131:132], v[143:144]
	v_fma_f64 v[68:69], v[68:69], v[131:132], -v[153:154]
	v_fma_f64 v[70:71], v[70:71], v[131:132], v[155:156]
	;; [unrolled: 2-line block ×5, first 2 shown]
	v_add_f64 v[44:45], v[8:9], -v[44:45]
	v_add_f64 v[46:47], v[10:11], -v[46:47]
	v_fma_f64 v[80:81], v[80:81], v[131:132], -v[165:166]
	v_fma_f64 v[82:83], v[82:83], v[131:132], v[167:168]
	v_add_f64 v[52:53], v[48:49], -v[52:53]
	v_add_f64 v[54:55], v[50:51], -v[54:55]
	;; [unrolled: 1-line block ×4, first 2 shown]
	v_mul_f64 v[173:174], v[2:3], v[133:134]
	v_mul_f64 v[133:134], v[0:1], v[133:134]
	v_fma_f64 v[84:85], v[84:85], v[131:132], -v[169:170]
	v_fma_f64 v[86:87], v[86:87], v[131:132], v[171:172]
	v_add_f64 v[56:57], v[16:17], -v[56:57]
	v_add_f64 v[58:59], v[18:19], -v[58:59]
	;; [unrolled: 1-line block ×10, first 2 shown]
	v_fma_f64 v[8:9], v[8:9], 2.0, -v[44:45]
	v_fma_f64 v[10:11], v[10:11], 2.0, -v[46:47]
	v_add_f64 v[80:81], v[40:41], -v[80:81]
	v_add_f64 v[82:83], v[42:43], -v[82:83]
	v_fma_f64 v[48:49], v[48:49], 2.0, -v[52:53]
	v_fma_f64 v[50:51], v[50:51], 2.0, -v[54:55]
	v_fma_f64 v[24:25], v[24:25], 2.0, -v[64:65]
	v_fma_f64 v[26:27], v[26:27], 2.0, -v[66:67]
	v_fma_f64 v[0:1], v[0:1], v[131:132], -v[173:174]
	v_fma_f64 v[2:3], v[2:3], v[131:132], v[133:134]
	v_add_f64 v[84:85], v[36:37], -v[84:85]
	v_add_f64 v[86:87], v[38:39], -v[86:87]
	v_fma_f64 v[16:17], v[16:17], 2.0, -v[56:57]
	v_fma_f64 v[18:19], v[18:19], 2.0, -v[58:59]
	;; [unrolled: 1-line block ×10, first 2 shown]
	ds_write_b128 v130, v[44:47] offset:32
	ds_write_b128 v130, v[8:11]
	ds_write_b128 v175, v[48:51]
	ds_write_b128 v175, v[52:55] offset:32
	ds_write_b128 v128, v[16:19]
	ds_write_b128 v128, v[56:59] offset:32
	;; [unrolled: 2-line block ×3, first 2 shown]
	v_and_or_b32 v8, v123, s6, v129
	v_lshl_add_u32 v8, v8, 4, 0
	s_movk_i32 s6, 0x3fc
	v_fma_f64 v[40:41], v[40:41], 2.0, -v[80:81]
	v_fma_f64 v[42:43], v[42:43], 2.0, -v[82:83]
	ds_write_b128 v8, v[24:27]
	ds_write_b128 v8, v[64:67] offset:32
	v_and_or_b32 v8, v121, s6, v129
	v_lshl_add_u32 v8, v8, 4, 0
	v_add_f64 v[0:1], v[4:5], -v[0:1]
	v_add_f64 v[2:3], v[6:7], -v[2:3]
	v_fma_f64 v[36:37], v[36:37], 2.0, -v[84:85]
	v_fma_f64 v[38:39], v[38:39], 2.0, -v[86:87]
	ds_write_b128 v8, v[20:23]
	ds_write_b128 v8, v[68:71] offset:32
	v_and_or_b32 v8, v120, s2, v129
	v_lshl_add_u32 v8, v8, 4, 0
	ds_write_b128 v8, v[32:35]
	ds_write_b128 v8, v[72:75] offset:32
	v_and_or_b32 v8, v125, s2, v129
	v_lshl_add_u32 v8, v8, 4, 0
	;; [unrolled: 4-line block ×4, first 2 shown]
	ds_write_b128 v8, v[36:39]
	ds_write_b128 v8, v[84:87] offset:32
	s_and_saveexec_b64 s[2:3], vcc
	s_cbranch_execz .LBB0_19
; %bb.18:
	v_fma_f64 v[6:7], v[6:7], 2.0, -v[2:3]
	v_fma_f64 v[4:5], v[4:5], 2.0, -v[0:1]
	v_lshlrev_b32_e32 v8, 1, v96
	v_and_or_b32 v8, v8, s6, v129
	v_lshl_add_u32 v8, v8, 4, 0
	ds_write_b128 v8, v[4:7]
	ds_write_b128 v8, v[0:3] offset:32
.LBB0_19:
	s_or_b64 exec, exec, s[2:3]
	v_and_b32_e32 v4, 3, v90
	v_lshlrev_b32_e32 v13, 5, v4
	s_waitcnt lgkmcnt(0)
	; wave barrier
	s_waitcnt lgkmcnt(0)
	global_load_dwordx4 v[5:8], v13, s[12:13] offset:32
	global_load_dwordx4 v[9:12], v13, s[12:13] offset:48
	v_add_u32_e32 v113, v113, v119
	ds_read_b128 v[13:16], v108
	ds_read_b128 v[17:20], v108 offset:5632
	ds_read_b128 v[21:24], v112
	ds_read_b128 v[25:28], v111
	ds_read_b128 v[29:32], v108 offset:10560
	ds_read_b128 v[33:36], v108 offset:11264
	;; [unrolled: 1-line block ×4, first 2 shown]
	ds_read_b128 v[45:48], v110
	ds_read_b128 v[49:52], v109
	ds_read_b128 v[53:56], v108 offset:11968
	ds_read_b128 v[57:60], v108 offset:12672
	v_add_u32_e32 v115, v114, v115
	ds_read_b128 v[61:64], v108 offset:7744
	ds_read_b128 v[65:68], v108 offset:8448
	v_add_u32_e32 v114, v117, v118
	ds_read_b128 v[69:72], v108 offset:9856
	ds_read_b128 v[73:76], v108 offset:9152
	;; [unrolled: 1-line block ×4, first 2 shown]
	ds_read_b128 v[117:120], v113
	s_mov_b32 s2, 0xe8584caa
	s_mov_b32 s3, 0x3febb67a
	;; [unrolled: 1-line block ×4, first 2 shown]
	ds_read_b128 v[121:124], v115
	ds_read_b128 v[125:128], v114
	s_waitcnt lgkmcnt(0)
	; wave barrier
	s_waitcnt lgkmcnt(0)
	v_add_u32_e32 v116, v105, v116
	s_mov_b32 s14, 0xe976ee23
	s_mov_b32 s8, 0x429ad128
	;; [unrolled: 1-line block ×16, first 2 shown]
	s_waitcnt vmcnt(1)
	v_mul_f64 v[85:86], v[119:120], v[7:8]
	v_mul_f64 v[129:130], v[117:118], v[7:8]
	s_waitcnt vmcnt(0)
	v_mul_f64 v[133:134], v[69:70], v[11:12]
	v_mul_f64 v[131:132], v[71:72], v[11:12]
	;; [unrolled: 1-line block ×9, first 2 shown]
	v_fma_f64 v[85:86], v[117:118], v[5:6], -v[85:86]
	v_fma_f64 v[117:118], v[119:120], v[5:6], v[129:130]
	v_fma_f64 v[71:72], v[71:72], v[9:10], v[133:134]
	v_mul_f64 v[143:144], v[39:40], v[7:8]
	v_mul_f64 v[145:146], v[37:38], v[7:8]
	;; [unrolled: 1-line block ×17, first 2 shown]
	v_fma_f64 v[69:70], v[69:70], v[9:10], -v[131:132]
	v_fma_f64 v[17:18], v[17:18], v[5:6], -v[135:136]
	v_fma_f64 v[19:20], v[19:20], v[5:6], v[137:138]
	v_fma_f64 v[29:30], v[29:30], v[9:10], -v[139:140]
	v_fma_f64 v[31:32], v[31:32], v[9:10], v[141:142]
	;; [unrolled: 2-line block ×3, first 2 shown]
	v_fma_f64 v[43:44], v[53:54], v[9:10], -v[155:156]
	v_add_f64 v[53:54], v[117:118], v[71:72]
	v_fma_f64 v[37:38], v[37:38], v[5:6], -v[143:144]
	v_fma_f64 v[39:40], v[39:40], v[5:6], v[145:146]
	v_fma_f64 v[33:34], v[33:34], v[9:10], -v[147:148]
	v_fma_f64 v[35:36], v[35:36], v[9:10], v[149:150]
	v_fma_f64 v[55:56], v[55:56], v[9:10], v[157:158]
	v_fma_f64 v[61:62], v[61:62], v[5:6], -v[159:160]
	v_fma_f64 v[63:64], v[63:64], v[5:6], v[161:162]
	v_fma_f64 v[57:58], v[57:58], v[9:10], -v[163:164]
	;; [unrolled: 2-line block ×6, first 2 shown]
	v_fma_f64 v[83:84], v[83:84], v[9:10], v[11:12]
	v_add_f64 v[5:6], v[13:14], v[85:86]
	v_add_f64 v[7:8], v[85:86], v[69:70]
	v_add_f64 v[11:12], v[117:118], -v[71:72]
	v_add_f64 v[9:10], v[15:16], v[117:118]
	v_add_f64 v[65:66], v[85:86], -v[69:70]
	v_add_f64 v[85:86], v[17:18], v[29:30]
	v_add_f64 v[117:118], v[19:20], -v[31:32]
	v_add_f64 v[133:134], v[23:24], v[19:20]
	v_add_f64 v[19:20], v[19:20], v[31:32]
	v_fma_f64 v[53:54], v[53:54], -0.5, v[15:16]
	v_add_f64 v[73:74], v[21:22], v[17:18]
	v_add_f64 v[135:136], v[17:18], -v[29:30]
	v_fma_f64 v[17:18], v[7:8], -0.5, v[13:14]
	v_add_f64 v[137:138], v[37:38], v[33:34]
	v_add_f64 v[5:6], v[5:6], v[69:70]
	v_fma_f64 v[69:70], v[85:86], -0.5, v[21:22]
	v_add_f64 v[7:8], v[9:10], v[71:72]
	v_fma_f64 v[71:72], v[19:20], -0.5, v[23:24]
	v_fma_f64 v[15:16], v[65:66], s[6:7], v[53:54]
	v_fma_f64 v[19:20], v[65:66], s[2:3], v[53:54]
	v_add_f64 v[53:54], v[25:26], v[37:38]
	v_add_f64 v[9:10], v[73:74], v[29:30]
	;; [unrolled: 1-line block ×3, first 2 shown]
	v_fma_f64 v[21:22], v[117:118], s[2:3], v[69:70]
	v_fma_f64 v[29:30], v[117:118], s[6:7], v[69:70]
	v_fma_f64 v[69:70], v[137:138], -0.5, v[25:26]
	v_add_f64 v[73:74], v[39:40], -v[35:36]
	v_fma_f64 v[13:14], v[11:12], s[2:3], v[17:18]
	v_add_f64 v[25:26], v[53:54], v[33:34]
	v_add_f64 v[53:54], v[119:120], v[43:44]
	v_fma_f64 v[17:18], v[11:12], s[6:7], v[17:18]
	v_add_f64 v[11:12], v[133:134], v[31:32]
	v_fma_f64 v[23:24], v[135:136], s[6:7], v[71:72]
	v_fma_f64 v[31:32], v[135:136], s[2:3], v[71:72]
	v_add_f64 v[39:40], v[27:28], v[39:40]
	v_fma_f64 v[65:66], v[65:66], -0.5, v[27:28]
	v_add_f64 v[71:72], v[37:38], -v[33:34]
	v_fma_f64 v[33:34], v[73:74], s[2:3], v[69:70]
	v_fma_f64 v[37:38], v[73:74], s[6:7], v[69:70]
	v_add_f64 v[69:70], v[45:46], v[119:120]
	v_add_f64 v[73:74], v[41:42], v[55:56]
	v_fma_f64 v[53:54], v[53:54], -0.5, v[45:46]
	v_add_f64 v[85:86], v[41:42], -v[55:56]
	v_add_f64 v[27:28], v[39:40], v[35:36]
	v_fma_f64 v[35:36], v[71:72], s[6:7], v[65:66]
	v_add_f64 v[117:118], v[47:48], v[41:42]
	v_fma_f64 v[39:40], v[71:72], s[2:3], v[65:66]
	v_add_f64 v[41:42], v[69:70], v[43:44]
	v_add_f64 v[65:66], v[61:62], v[57:58]
	v_fma_f64 v[69:70], v[73:74], -0.5, v[47:48]
	v_add_f64 v[71:72], v[119:120], -v[43:44]
	v_fma_f64 v[45:46], v[85:86], s[2:3], v[53:54]
	v_fma_f64 v[53:54], v[85:86], s[6:7], v[53:54]
	v_add_f64 v[73:74], v[63:64], v[59:60]
	v_add_f64 v[85:86], v[49:50], v[61:62]
	;; [unrolled: 1-line block ×4, first 2 shown]
	v_fma_f64 v[65:66], v[65:66], -0.5, v[49:50]
	v_add_f64 v[117:118], v[63:64], -v[59:60]
	v_fma_f64 v[47:48], v[71:72], s[6:7], v[69:70]
	v_fma_f64 v[55:56], v[71:72], s[2:3], v[69:70]
	v_add_f64 v[63:64], v[51:52], v[63:64]
	v_fma_f64 v[69:70], v[73:74], -0.5, v[51:52]
	v_add_f64 v[71:72], v[61:62], -v[57:58]
	v_add_f64 v[49:50], v[85:86], v[57:58]
	v_add_f64 v[73:74], v[121:122], v[129:130]
	v_fma_f64 v[85:86], v[119:120], -0.5, v[121:122]
	v_add_f64 v[119:120], v[67:68], -v[79:80]
	v_fma_f64 v[57:58], v[117:118], s[2:3], v[65:66]
	v_fma_f64 v[61:62], v[117:118], s[6:7], v[65:66]
	v_add_f64 v[51:52], v[63:64], v[59:60]
	v_fma_f64 v[59:60], v[71:72], s[6:7], v[69:70]
	v_add_f64 v[117:118], v[67:68], v[79:80]
	;; [unrolled: 2-line block ×3, first 2 shown]
	v_add_f64 v[71:72], v[131:132], v[81:82]
	v_fma_f64 v[69:70], v[119:120], s[2:3], v[85:86]
	v_fma_f64 v[73:74], v[119:120], s[6:7], v[85:86]
	v_add_f64 v[85:86], v[75:76], v[83:84]
	v_add_f64 v[67:68], v[123:124], v[67:68]
	v_fma_f64 v[117:118], v[117:118], -0.5, v[123:124]
	v_add_f64 v[77:78], v[129:130], -v[77:78]
	v_add_f64 v[119:120], v[125:126], v[131:132]
	v_fma_f64 v[121:122], v[71:72], -0.5, v[125:126]
	v_add_f64 v[125:126], v[127:128], v[75:76]
	v_add_f64 v[123:124], v[75:76], -v[83:84]
	v_fma_f64 v[85:86], v[85:86], -0.5, v[127:128]
	v_add_f64 v[127:128], v[131:132], -v[81:82]
	v_add_f64 v[67:68], v[67:68], v[79:80]
	v_fma_f64 v[71:72], v[77:78], s[6:7], v[117:118]
	v_fma_f64 v[75:76], v[77:78], s[2:3], v[117:118]
	v_add_f64 v[77:78], v[119:120], v[81:82]
	v_add_f64 v[79:80], v[125:126], v[83:84]
	v_fma_f64 v[81:82], v[123:124], s[2:3], v[121:122]
	v_fma_f64 v[117:118], v[123:124], s[6:7], v[121:122]
	;; [unrolled: 1-line block ×4, first 2 shown]
	v_lshrrev_b32_e32 v85, 2, v90
	v_mul_u32_u24_e32 v85, 12, v85
	v_or_b32_e32 v85, v85, v4
	v_lshrrev_b32_e32 v86, 2, v94
	v_lshl_add_u32 v85, v85, 4, 0
	v_mul_lo_u32 v86, v86, 12
	ds_write_b128 v85, v[5:8]
	ds_write_b128 v85, v[13:16] offset:64
	ds_write_b128 v85, v[17:20] offset:128
	v_lshrrev_b32_e32 v6, 2, v104
	v_mul_lo_u32 v6, v6, 12
	v_or_b32_e32 v5, v86, v4
	v_lshl_add_u32 v5, v5, 4, 0
	ds_write_b128 v5, v[9:12]
	ds_write_b128 v5, v[21:24] offset:64
	ds_write_b128 v5, v[29:32] offset:128
	v_or_b32_e32 v5, v6, v4
	v_lshrrev_b32_e32 v6, 2, v103
	v_mul_lo_u32 v6, v6, 12
	v_lshl_add_u32 v5, v5, 4, 0
	ds_write_b128 v5, v[25:28]
	ds_write_b128 v5, v[33:36] offset:64
	ds_write_b128 v5, v[37:40] offset:128
	s_movk_i32 s2, 0xab
	v_or_b32_e32 v5, v6, v4
	v_lshrrev_b32_e32 v6, 2, v102
	v_mul_lo_u32 v6, v6, 12
	v_lshl_add_u32 v5, v5, 4, 0
	ds_write_b128 v5, v[41:44]
	ds_write_b128 v5, v[45:48] offset:64
	ds_write_b128 v5, v[53:56] offset:128
	s_mov_b32 s6, 0x37e14327
	v_or_b32_e32 v5, v6, v4
	v_lshrrev_b32_e32 v6, 2, v101
	v_mul_lo_u32 v6, v6, 12
	v_lshl_add_u32 v5, v5, 4, 0
	ds_write_b128 v5, v[49:52]
	ds_write_b128 v5, v[57:60] offset:64
	ds_write_b128 v5, v[61:64] offset:128
	v_mov_b32_e32 v58, 6
	v_or_b32_e32 v5, v6, v4
	v_lshrrev_b32_e32 v6, 2, v100
	v_mul_lo_u32 v6, v6, 12
	v_lshl_add_u32 v5, v5, 4, 0
	ds_write_b128 v5, v[65:68]
	ds_write_b128 v5, v[69:72] offset:64
	ds_write_b128 v5, v[73:76] offset:128
	s_mov_b32 s7, 0x3fe948f6
	v_or_b32_e32 v4, v6, v4
	v_lshl_add_u32 v4, v4, 4, 0
	ds_write_b128 v4, v[77:80]
	ds_write_b128 v4, v[81:84] offset:64
	ds_write_b128 v4, v[117:120] offset:128
	v_mul_lo_u16_sdwa v4, v90, s2 dst_sel:DWORD dst_unused:UNUSED_PAD src0_sel:BYTE_0 src1_sel:DWORD
	v_lshrrev_b16_e32 v44, 11, v4
	v_mul_lo_u16_e32 v4, 12, v44
	v_sub_u16_e32 v45, v90, v4
	v_mul_u32_u24_sdwa v4, v45, v58 dst_sel:DWORD dst_unused:UNUSED_PAD src0_sel:BYTE_0 src1_sel:DWORD
	v_lshlrev_b32_e32 v28, 4, v4
	s_waitcnt lgkmcnt(0)
	; wave barrier
	s_waitcnt lgkmcnt(0)
	global_load_dwordx4 v[4:7], v28, s[12:13] offset:160
	global_load_dwordx4 v[8:11], v28, s[12:13] offset:176
	;; [unrolled: 1-line block ×6, first 2 shown]
	v_mul_lo_u16_sdwa v28, v94, s2 dst_sel:DWORD dst_unused:UNUSED_PAD src0_sel:BYTE_0 src1_sel:DWORD
	v_lshrrev_b16_e32 v46, 11, v28
	v_mul_lo_u16_e32 v28, 12, v46
	v_sub_u16_e32 v47, v94, v28
	v_mul_u32_u24_sdwa v28, v47, v58 dst_sel:DWORD dst_unused:UNUSED_PAD src0_sel:BYTE_0 src1_sel:DWORD
	v_lshlrev_b32_e32 v48, 4, v28
	global_load_dwordx4 v[28:31], v48, s[12:13] offset:160
	global_load_dwordx4 v[32:35], v48, s[12:13] offset:176
	;; [unrolled: 1-line block ×6, first 2 shown]
	v_mul_lo_u16_sdwa v48, v104, s2 dst_sel:DWORD dst_unused:UNUSED_PAD src0_sel:BYTE_0 src1_sel:DWORD
	v_lshrrev_b16_e32 v48, 11, v48
	v_mul_lo_u16_e32 v49, 12, v48
	v_sub_u16_e32 v49, v104, v49
	v_mul_u32_u24_sdwa v58, v49, v58 dst_sel:DWORD dst_unused:UNUSED_PAD src0_sel:BYTE_0 src1_sel:DWORD
	v_lshlrev_b32_e32 v82, 4, v58
	global_load_dwordx4 v[58:61], v82, s[12:13] offset:160
	global_load_dwordx4 v[62:65], v82, s[12:13] offset:176
	;; [unrolled: 1-line block ×6, first 2 shown]
	ds_read_b128 v[82:85], v110
	ds_read_b128 v[117:120], v114
	;; [unrolled: 1-line block ×4, first 2 shown]
	ds_read_b128 v[129:132], v108 offset:2816
	ds_read_b128 v[133:136], v108 offset:10560
	;; [unrolled: 1-line block ×3, first 2 shown]
	ds_read_b128 v[141:144], v112
	ds_read_b128 v[145:148], v111
	ds_read_b128 v[149:152], v108 offset:4928
	ds_read_b128 v[153:156], v108 offset:3520
	;; [unrolled: 1-line block ×12, first 2 shown]
	s_mov_b32 s2, 0x36b3c0b5
	s_mov_b32 s3, 0x3fac98ee
	v_mul_u32_u24_e32 v44, 0x540, v44
	s_waitcnt lgkmcnt(0)
	; wave barrier
	s_waitcnt vmcnt(17) lgkmcnt(0)
	v_mul_f64 v[86:87], v[84:85], v[6:7]
	v_mul_f64 v[6:7], v[82:83], v[6:7]
	s_waitcnt vmcnt(13)
	v_mul_f64 v[197:198], v[135:136], v[22:23]
	v_mul_f64 v[22:23], v[133:134], v[22:23]
	v_fma_f64 v[82:83], v[82:83], v[4:5], -v[86:87]
	v_fma_f64 v[4:5], v[84:85], v[4:5], v[6:7]
	v_mul_f64 v[6:7], v[119:120], v[10:11]
	v_mul_f64 v[10:11], v[117:118], v[10:11]
	;; [unrolled: 1-line block ×6, first 2 shown]
	v_fma_f64 v[6:7], v[117:118], v[8:9], -v[6:7]
	v_fma_f64 v[8:9], v[119:120], v[8:9], v[10:11]
	v_fma_f64 v[10:11], v[121:122], v[12:13], -v[84:85]
	v_fma_f64 v[12:13], v[123:124], v[12:13], v[14:15]
	;; [unrolled: 2-line block ×4, first 2 shown]
	s_waitcnt vmcnt(12)
	v_mul_f64 v[22:23], v[183:184], v[26:27]
	v_mul_f64 v[26:27], v[181:182], v[26:27]
	s_waitcnt vmcnt(11)
	v_mul_f64 v[84:85], v[131:132], v[30:31]
	v_mul_f64 v[30:31], v[129:130], v[30:31]
	;; [unrolled: 3-line block ×4, first 2 shown]
	v_fma_f64 v[22:23], v[181:182], v[24:25], -v[22:23]
	v_fma_f64 v[24:25], v[183:184], v[24:25], v[26:27]
	v_fma_f64 v[26:27], v[129:130], v[28:29], -v[84:85]
	v_fma_f64 v[28:29], v[131:132], v[28:29], v[30:31]
	;; [unrolled: 2-line block ×3, first 2 shown]
	v_fma_f64 v[34:35], v[157:158], v[36:37], -v[117:118]
	s_waitcnt vmcnt(7)
	v_mul_f64 v[86:87], v[191:192], v[52:53]
	v_mul_f64 v[52:53], v[189:190], v[52:53]
	s_waitcnt vmcnt(5)
	v_mul_f64 v[117:118], v[155:156], v[60:61]
	v_mul_f64 v[60:61], v[153:154], v[60:61]
	v_fma_f64 v[36:37], v[159:160], v[36:37], v[38:39]
	v_mul_f64 v[38:39], v[175:176], v[42:43]
	v_mul_f64 v[42:43], v[173:174], v[42:43]
	v_mul_f64 v[84:85], v[139:140], v[56:57]
	v_fma_f64 v[86:87], v[189:190], v[50:51], -v[86:87]
	v_fma_f64 v[119:120], v[191:192], v[50:51], v[52:53]
	v_fma_f64 v[129:130], v[153:154], v[58:59], -v[117:118]
	v_fma_f64 v[131:132], v[155:156], v[58:59], v[60:61]
	s_waitcnt vmcnt(4)
	v_mul_f64 v[50:51], v[163:164], v[64:65]
	v_mul_f64 v[52:53], v[161:162], v[64:65]
	s_waitcnt vmcnt(2)
	v_mul_f64 v[58:59], v[179:180], v[72:73]
	v_mul_f64 v[56:57], v[137:138], v[56:57]
	v_fma_f64 v[38:39], v[173:174], v[40:41], -v[38:39]
	v_fma_f64 v[40:41], v[175:176], v[40:41], v[42:43]
	v_fma_f64 v[42:43], v[137:138], v[54:55], -v[84:85]
	v_mul_f64 v[60:61], v[177:178], v[72:73]
	v_fma_f64 v[133:134], v[161:162], v[62:63], -v[50:51]
	v_fma_f64 v[135:136], v[163:164], v[62:63], v[52:53]
	v_fma_f64 v[149:150], v[177:178], v[70:71], -v[58:59]
	v_add_f64 v[50:51], v[82:83], v[22:23]
	v_add_f64 v[52:53], v[4:5], v[24:25]
	v_add_f64 v[4:5], v[4:5], -v[24:25]
	v_add_f64 v[24:25], v[6:7], v[18:19]
	v_add_f64 v[58:59], v[8:9], v[20:21]
	v_fma_f64 v[84:85], v[139:140], v[54:55], v[56:57]
	v_mul_f64 v[54:55], v[171:172], v[68:69]
	v_mul_f64 v[56:57], v[169:170], v[68:69]
	s_waitcnt vmcnt(0)
	v_mul_f64 v[64:65], v[187:188], v[80:81]
	v_mul_f64 v[68:69], v[185:186], v[80:81]
	v_add_f64 v[6:7], v[6:7], -v[18:19]
	v_add_f64 v[8:9], v[8:9], -v[20:21]
	v_add_f64 v[18:19], v[10:11], v[14:15]
	v_add_f64 v[20:21], v[12:13], v[16:17]
	v_add_f64 v[10:11], v[14:15], -v[10:11]
	v_add_f64 v[12:13], v[16:17], -v[12:13]
	v_add_f64 v[14:15], v[24:25], v[50:51]
	v_add_f64 v[16:17], v[58:59], v[52:53]
	v_fma_f64 v[137:138], v[169:170], v[66:67], -v[54:55]
	v_fma_f64 v[139:140], v[171:172], v[66:67], v[56:57]
	v_fma_f64 v[151:152], v[179:180], v[70:71], v[60:61]
	v_fma_f64 v[153:154], v[185:186], v[78:79], -v[64:65]
	v_fma_f64 v[155:156], v[187:188], v[78:79], v[68:69]
	v_add_f64 v[22:23], v[82:83], -v[22:23]
	v_add_f64 v[60:61], v[24:25], -v[50:51]
	;; [unrolled: 1-line block ×7, first 2 shown]
	v_add_f64 v[50:51], v[10:11], v[6:7]
	v_add_f64 v[52:53], v[12:13], v[8:9]
	v_add_f64 v[68:69], v[10:11], -v[6:7]
	v_add_f64 v[70:71], v[12:13], -v[8:9]
	v_add_f64 v[14:15], v[18:19], v[14:15]
	v_add_f64 v[16:17], v[20:21], v[16:17]
	v_add_f64 v[8:9], v[8:9], -v[4:5]
	v_mul_f64 v[54:55], v[195:196], v[76:77]
	v_mul_f64 v[56:57], v[193:194], v[76:77]
	v_add_f64 v[10:11], v[22:23], -v[10:11]
	v_add_f64 v[12:13], v[4:5], -v[12:13]
	;; [unrolled: 1-line block ×3, first 2 shown]
	v_add_f64 v[18:19], v[50:51], v[22:23]
	v_add_f64 v[4:5], v[52:53], v[4:5]
	;; [unrolled: 1-line block ×4, first 2 shown]
	v_mul_f64 v[20:21], v[64:65], s[6:7]
	v_mul_f64 v[22:23], v[66:67], s[6:7]
	;; [unrolled: 1-line block ×8, first 2 shown]
	v_fma_f64 v[14:15], v[14:15], s[16:17], v[50:51]
	v_fma_f64 v[16:17], v[16:17], s[16:17], v[52:53]
	v_fma_f64 v[24:25], v[24:25], s[2:3], v[20:21]
	v_fma_f64 v[58:59], v[58:59], s[2:3], v[22:23]
	v_fma_f64 v[64:65], v[60:61], s[18:19], -v[64:65]
	v_fma_f64 v[66:67], v[62:63], s[18:19], -v[66:67]
	v_fma_f64 v[20:21], v[60:61], s[20:21], -v[20:21]
	v_fma_f64 v[22:23], v[62:63], s[20:21], -v[22:23]
	v_fma_f64 v[62:63], v[12:13], s[22:23], v[70:71]
	v_fma_f64 v[6:7], v[6:7], s[8:9], -v[68:69]
	v_fma_f64 v[8:9], v[8:9], s[8:9], -v[70:71]
	;; [unrolled: 1-line block ×3, first 2 shown]
	v_fma_f64 v[60:61], v[10:11], s[22:23], v[68:69]
	v_fma_f64 v[10:11], v[10:11], s[26:27], -v[72:73]
	v_add_f64 v[24:25], v[24:25], v[14:15]
	v_add_f64 v[68:69], v[64:65], v[14:15]
	;; [unrolled: 1-line block ×4, first 2 shown]
	v_fma_f64 v[20:21], v[4:5], s[24:25], v[62:63]
	v_fma_f64 v[12:13], v[4:5], s[24:25], v[12:13]
	;; [unrolled: 1-line block ×4, first 2 shown]
	v_add_f64 v[80:81], v[58:59], v[16:17]
	v_add_f64 v[16:17], v[22:23], v[16:17]
	v_fma_f64 v[10:11], v[18:19], s[24:25], v[10:11]
	v_fma_f64 v[22:23], v[18:19], s[24:25], v[60:61]
	v_add_f64 v[8:9], v[26:27], -v[86:87]
	v_add_f64 v[58:59], v[12:13], v[14:15]
	v_add_f64 v[62:63], v[68:69], -v[4:5]
	v_add_f64 v[64:65], v[6:7], v[70:71]
	v_add_f64 v[66:67], v[4:5], v[68:69]
	v_add_f64 v[68:69], v[70:71], -v[6:7]
	v_add_f64 v[70:71], v[14:15], -v[12:13]
	v_add_f64 v[4:5], v[26:27], v[86:87]
	v_add_f64 v[6:7], v[28:29], v[119:120]
	;; [unrolled: 1-line block ×4, first 2 shown]
	v_add_f64 v[60:61], v[16:17], -v[10:11]
	v_add_f64 v[72:73], v[10:11], v[16:17]
	v_add_f64 v[10:11], v[28:29], -v[119:120]
	v_add_f64 v[16:17], v[30:31], -v[42:43]
	;; [unrolled: 1-line block ×3, first 2 shown]
	v_add_f64 v[28:29], v[34:35], v[38:39]
	v_add_f64 v[30:31], v[36:37], v[40:41]
	v_add_f64 v[32:33], v[38:39], -v[34:35]
	v_add_f64 v[34:35], v[40:41], -v[36:37]
	v_add_f64 v[36:37], v[12:13], v[4:5]
	v_add_f64 v[38:39], v[14:15], v[6:7]
	v_fma_f64 v[18:19], v[193:194], v[74:75], -v[54:55]
	v_fma_f64 v[125:126], v[195:196], v[74:75], v[56:57]
	v_add_f64 v[40:41], v[12:13], -v[4:5]
	v_add_f64 v[42:43], v[14:15], -v[6:7]
	;; [unrolled: 1-line block ×6, first 2 shown]
	v_add_f64 v[74:75], v[32:33], v[16:17]
	v_add_f64 v[76:77], v[34:35], v[26:27]
	v_add_f64 v[78:79], v[32:33], -v[16:17]
	v_add_f64 v[82:83], v[34:35], -v[26:27]
	v_add_f64 v[28:29], v[28:29], v[36:37]
	v_add_f64 v[30:31], v[30:31], v[38:39]
	v_add_f64 v[32:33], v[8:9], -v[32:33]
	v_add_f64 v[34:35], v[10:11], -v[34:35]
	v_add_f64 v[16:17], v[16:17], -v[8:9]
	v_add_f64 v[26:27], v[26:27], -v[10:11]
	v_add_f64 v[8:9], v[74:75], v[8:9]
	v_add_f64 v[10:11], v[76:77], v[10:11]
	;; [unrolled: 1-line block ×4, first 2 shown]
	v_mul_f64 v[4:5], v[4:5], s[6:7]
	v_mul_f64 v[6:7], v[6:7], s[6:7]
	;; [unrolled: 1-line block ×8, first 2 shown]
	v_fma_f64 v[28:29], v[28:29], s[16:17], v[74:75]
	v_fma_f64 v[30:31], v[30:31], s[16:17], v[76:77]
	v_fma_f64 v[12:13], v[12:13], s[2:3], v[4:5]
	v_fma_f64 v[14:15], v[14:15], s[2:3], v[6:7]
	v_fma_f64 v[36:37], v[40:41], s[18:19], -v[36:37]
	v_fma_f64 v[38:39], v[42:43], s[18:19], -v[38:39]
	;; [unrolled: 1-line block ×6, first 2 shown]
	v_fma_f64 v[40:41], v[32:33], s[22:23], v[78:79]
	v_fma_f64 v[42:43], v[34:35], s[22:23], v[82:83]
	v_fma_f64 v[32:33], v[32:33], s[26:27], -v[84:85]
	v_fma_f64 v[34:35], v[34:35], s[26:27], -v[86:87]
	v_add_f64 v[86:87], v[12:13], v[28:29]
	v_add_f64 v[127:128], v[14:15], v[30:31]
	;; [unrolled: 1-line block ×6, first 2 shown]
	v_fma_f64 v[4:5], v[10:11], s[24:25], v[26:27]
	v_fma_f64 v[6:7], v[8:9], s[24:25], v[16:17]
	v_add_f64 v[54:55], v[20:21], v[24:25]
	v_add_f64 v[56:57], v[80:81], -v[22:23]
	v_fma_f64 v[34:35], v[10:11], s[24:25], v[34:35]
	v_fma_f64 v[32:33], v[8:9], s[24:25], v[32:33]
	v_add_f64 v[78:79], v[24:25], -v[20:21]
	v_add_f64 v[80:81], v[22:23], v[80:81]
	v_add_f64 v[121:122], v[12:13], -v[4:5]
	v_add_f64 v[123:124], v[6:7], v[14:15]
	v_add_f64 v[4:5], v[4:5], v[12:13]
	v_add_f64 v[6:7], v[14:15], -v[6:7]
	v_add_f64 v[12:13], v[129:130], v[18:19]
	v_add_f64 v[14:15], v[131:132], v[125:126]
	;; [unrolled: 1-line block ×4, first 2 shown]
	v_fma_f64 v[36:37], v[10:11], s[24:25], v[42:43]
	v_fma_f64 v[38:39], v[8:9], s[24:25], v[40:41]
	v_add_f64 v[117:118], v[34:35], v[28:29]
	v_add_f64 v[119:120], v[30:31], -v[32:33]
	v_add_f64 v[8:9], v[28:29], -v[34:35]
	v_add_f64 v[10:11], v[32:33], v[30:31]
	v_add_f64 v[24:25], v[133:134], -v[153:154]
	v_add_f64 v[26:27], v[135:136], -v[155:156]
	v_add_f64 v[28:29], v[137:138], v[149:150]
	v_add_f64 v[30:31], v[139:140], v[151:152]
	v_add_f64 v[32:33], v[149:150], -v[137:138]
	v_add_f64 v[34:35], v[151:152], -v[139:140]
	v_add_f64 v[40:41], v[20:21], v[12:13]
	v_add_f64 v[42:43], v[22:23], v[14:15]
	v_add_f64 v[16:17], v[129:130], -v[18:19]
	v_add_f64 v[18:19], v[131:132], -v[125:126]
	;; [unrolled: 1-line block ×8, first 2 shown]
	v_add_f64 v[12:13], v[32:33], v[24:25]
	v_add_f64 v[14:15], v[34:35], v[26:27]
	v_add_f64 v[135:136], v[32:33], -v[24:25]
	v_add_f64 v[137:138], v[34:35], -v[26:27]
	v_add_f64 v[28:29], v[28:29], v[40:41]
	v_add_f64 v[30:31], v[30:31], v[42:43]
	v_add_f64 v[24:25], v[24:25], -v[16:17]
	v_add_f64 v[26:27], v[26:27], -v[18:19]
	;; [unrolled: 1-line block ×4, first 2 shown]
	v_add_f64 v[16:17], v[12:13], v[16:17]
	v_add_f64 v[18:19], v[14:15], v[18:19]
	v_add_f64 v[12:13], v[145:146], v[28:29]
	v_add_f64 v[14:15], v[147:148], v[30:31]
	v_mul_f64 v[40:41], v[131:132], s[6:7]
	v_mul_f64 v[42:43], v[133:134], s[6:7]
	;; [unrolled: 1-line block ×8, first 2 shown]
	v_fma_f64 v[28:29], v[28:29], s[16:17], v[12:13]
	v_fma_f64 v[30:31], v[30:31], s[16:17], v[14:15]
	v_fma_f64 v[20:21], v[20:21], s[2:3], v[40:41]
	v_fma_f64 v[22:23], v[22:23], s[2:3], v[42:43]
	v_fma_f64 v[131:132], v[125:126], s[18:19], -v[131:132]
	v_fma_f64 v[133:134], v[129:130], s[18:19], -v[133:134]
	v_fma_f64 v[40:41], v[125:126], s[20:21], -v[40:41]
	v_fma_f64 v[42:43], v[129:130], s[20:21], -v[42:43]
	v_fma_f64 v[125:126], v[32:33], s[22:23], v[135:136]
	v_fma_f64 v[129:130], v[34:35], s[22:23], v[137:138]
	v_fma_f64 v[32:33], v[32:33], s[26:27], -v[139:140]
	v_fma_f64 v[34:35], v[34:35], s[26:27], -v[141:142]
	;; [unrolled: 1-line block ×4, first 2 shown]
	v_add_f64 v[135:136], v[20:21], v[28:29]
	v_add_f64 v[137:138], v[22:23], v[30:31]
	v_fma_f64 v[125:126], v[16:17], s[24:25], v[125:126]
	v_fma_f64 v[129:130], v[18:19], s[24:25], v[129:130]
	v_add_f64 v[40:41], v[40:41], v[28:29]
	v_add_f64 v[42:43], v[42:43], v[30:31]
	v_fma_f64 v[139:140], v[18:19], s[24:25], v[34:35]
	v_fma_f64 v[141:142], v[16:17], s[24:25], v[32:33]
	;; [unrolled: 4-line block ×3, first 2 shown]
	v_add_f64 v[82:83], v[36:37], v[86:87]
	v_add_f64 v[84:85], v[127:128], -v[38:39]
	v_add_f64 v[16:17], v[86:87], -v[36:37]
	v_add_f64 v[20:21], v[129:130], v[135:136]
	v_add_f64 v[22:23], v[137:138], -v[125:126]
	v_mov_b32_e32 v86, 4
	v_add_f64 v[24:25], v[139:140], v[40:41]
	v_add_f64 v[26:27], v[42:43], -v[141:142]
	v_lshlrev_b32_sdwa v45, v86, v45 dst_sel:DWORD dst_unused:UNUSED_PAD src0_sel:DWORD src1_sel:BYTE_0
	v_add_f64 v[28:29], v[131:132], -v[32:33]
	v_add_f64 v[30:31], v[34:35], v[133:134]
	v_add3_u32 v44, 0, v44, v45
	v_add_f64 v[18:19], v[38:39], v[127:128]
	v_add_f64 v[32:33], v[32:33], v[131:132]
	v_add_f64 v[34:35], v[133:134], -v[34:35]
	ds_write_b128 v44, v[50:53]
	ds_write_b128 v44, v[54:57] offset:192
	ds_write_b128 v44, v[58:61] offset:384
	ds_write_b128 v44, v[62:65] offset:576
	ds_write_b128 v44, v[66:69] offset:768
	ds_write_b128 v44, v[70:73] offset:960
	ds_write_b128 v44, v[78:81] offset:1152
	v_mul_u32_u24_e32 v44, 0x540, v46
	v_lshlrev_b32_sdwa v45, v86, v47 dst_sel:DWORD dst_unused:UNUSED_PAD src0_sel:DWORD src1_sel:BYTE_0
	v_add_f64 v[36:37], v[40:41], -v[139:140]
	v_add_f64 v[38:39], v[141:142], v[42:43]
	v_add3_u32 v44, 0, v44, v45
	v_add_f64 v[40:41], v[135:136], -v[129:130]
	v_add_f64 v[42:43], v[125:126], v[137:138]
	ds_write_b128 v44, v[74:77]
	ds_write_b128 v44, v[82:85] offset:192
	ds_write_b128 v44, v[117:120] offset:384
	;; [unrolled: 1-line block ×6, first 2 shown]
	v_mul_u32_u24_e32 v44, 0x540, v48
	v_lshlrev_b32_sdwa v45, v86, v49 dst_sel:DWORD dst_unused:UNUSED_PAD src0_sel:DWORD src1_sel:BYTE_0
	v_add3_u32 v44, 0, v44, v45
	ds_write_b128 v44, v[12:15]
	ds_write_b128 v44, v[20:23] offset:192
	ds_write_b128 v44, v[24:27] offset:384
	;; [unrolled: 1-line block ×6, first 2 shown]
	s_waitcnt lgkmcnt(0)
	; wave barrier
	s_waitcnt lgkmcnt(0)
	ds_read_b128 v[44:47], v108
	ds_read_b128 v[84:87], v108 offset:1344
	ds_read_b128 v[80:83], v108 offset:2688
	;; [unrolled: 1-line block ×10, first 2 shown]
	v_cmp_gt_u32_e64 s[2:3], 40, v90
	s_and_saveexec_b64 s[6:7], s[2:3]
	s_cbranch_execz .LBB0_21
; %bb.20:
	ds_read_b128 v[4:7], v112
	ds_read_b128 v[8:11], v108 offset:2048
	ds_read_b128 v[16:19], v108 offset:3392
	;; [unrolled: 1-line block ×10, first 2 shown]
.LBB0_21:
	s_or_b64 exec, exec, s[6:7]
	v_mul_u32_u24_e32 v105, 10, v90
	v_lshlrev_b32_e32 v105, 4, v105
	global_load_dwordx4 v[117:120], v105, s[12:13] offset:1312
	global_load_dwordx4 v[121:124], v105, s[12:13] offset:1328
	;; [unrolled: 1-line block ×10, first 2 shown]
	s_mov_b32 s6, 0xf8bb580b
	s_mov_b32 s14, 0x8eee2c13
	;; [unrolled: 1-line block ×28, first 2 shown]
	s_waitcnt lgkmcnt(0)
	; wave barrier
	s_waitcnt vmcnt(9) lgkmcnt(0)
	v_mul_f64 v[157:158], v[86:87], v[119:120]
	v_mul_f64 v[119:120], v[84:85], v[119:120]
	s_waitcnt vmcnt(8)
	v_mul_f64 v[159:160], v[82:83], v[123:124]
	v_mul_f64 v[123:124], v[80:81], v[123:124]
	s_waitcnt vmcnt(7)
	;; [unrolled: 3-line block ×4, first 2 shown]
	v_mul_f64 v[173:174], v[50:51], v[151:152]
	v_mul_f64 v[151:152], v[48:49], v[151:152]
	v_fma_f64 v[84:85], v[84:85], v[117:118], -v[157:158]
	v_fma_f64 v[86:87], v[86:87], v[117:118], v[119:120]
	v_fma_f64 v[80:81], v[80:81], v[121:122], -v[159:160]
	v_fma_f64 v[82:83], v[82:83], v[121:122], v[123:124]
	;; [unrolled: 2-line block ×4, first 2 shown]
	v_add_f64 v[117:118], v[44:45], v[84:85]
	v_add_f64 v[119:120], v[46:47], v[86:87]
	v_fma_f64 v[72:73], v[72:73], v[129:130], -v[163:164]
	v_fma_f64 v[74:75], v[74:75], v[129:130], v[131:132]
	v_mul_f64 v[165:166], v[70:71], v[135:136]
	v_mul_f64 v[135:136], v[68:69], v[135:136]
	v_add_f64 v[125:126], v[80:81], v[48:49]
	v_add_f64 v[127:128], v[82:83], v[50:51]
	v_add_f64 v[129:130], v[80:81], -v[48:49]
	v_add_f64 v[131:132], v[82:83], -v[50:51]
	v_add_f64 v[80:81], v[117:118], v[80:81]
	v_add_f64 v[82:83], v[119:120], v[82:83]
	v_mul_f64 v[167:168], v[62:63], v[139:140]
	v_mul_f64 v[139:140], v[60:61], v[139:140]
	s_waitcnt vmcnt(0)
	v_mul_f64 v[175:176], v[66:67], v[155:156]
	v_mul_f64 v[155:156], v[64:65], v[155:156]
	v_fma_f64 v[68:69], v[68:69], v[133:134], -v[165:166]
	v_fma_f64 v[70:71], v[70:71], v[133:134], v[135:136]
	v_add_f64 v[80:81], v[80:81], v[76:77]
	v_add_f64 v[82:83], v[82:83], v[78:79]
	v_mul_f64 v[169:170], v[58:59], v[143:144]
	v_mul_f64 v[143:144], v[56:57], v[143:144]
	v_fma_f64 v[60:61], v[60:61], v[137:138], -v[167:168]
	v_fma_f64 v[62:63], v[62:63], v[137:138], v[139:140]
	v_fma_f64 v[64:65], v[64:65], v[153:154], -v[175:176]
	v_fma_f64 v[66:67], v[66:67], v[153:154], v[155:156]
	v_add_f64 v[80:81], v[80:81], v[72:73]
	v_add_f64 v[82:83], v[82:83], v[74:75]
	v_mul_f64 v[171:172], v[54:55], v[147:148]
	v_mul_f64 v[147:148], v[52:53], v[147:148]
	v_fma_f64 v[56:57], v[56:57], v[141:142], -v[169:170]
	v_fma_f64 v[58:59], v[58:59], v[141:142], v[143:144]
	v_add_f64 v[121:122], v[84:85], v[64:65]
	v_add_f64 v[123:124], v[86:87], v[66:67]
	;; [unrolled: 1-line block ×4, first 2 shown]
	v_add_f64 v[86:87], v[86:87], -v[66:67]
	v_add_f64 v[84:85], v[84:85], -v[64:65]
	v_fma_f64 v[52:53], v[52:53], v[145:146], -v[171:172]
	v_fma_f64 v[54:55], v[54:55], v[145:146], v[147:148]
	v_mul_f64 v[145:146], v[131:132], s[14:15]
	v_mul_f64 v[147:148], v[129:130], s[14:15]
	v_add_f64 v[80:81], v[80:81], v[60:61]
	v_add_f64 v[82:83], v[82:83], v[62:63]
	v_mul_f64 v[117:118], v[86:87], s[6:7]
	v_mul_f64 v[119:120], v[84:85], s[6:7]
	;; [unrolled: 1-line block ×10, first 2 shown]
	v_add_f64 v[80:81], v[80:81], v[56:57]
	v_add_f64 v[82:83], v[82:83], v[58:59]
	v_fma_f64 v[157:158], v[121:122], s[8:9], -v[117:118]
	v_fma_f64 v[159:160], v[123:124], s[8:9], v[119:120]
	v_fma_f64 v[117:118], v[121:122], s[8:9], v[117:118]
	v_fma_f64 v[119:120], v[123:124], s[8:9], -v[119:120]
	v_fma_f64 v[161:162], v[121:122], s[16:17], -v[133:134]
	v_fma_f64 v[163:164], v[123:124], s[16:17], v[135:136]
	v_fma_f64 v[133:134], v[121:122], s[16:17], v[133:134]
	v_fma_f64 v[135:136], v[123:124], s[16:17], -v[135:136]
	;; [unrolled: 4-line block ×5, first 2 shown]
	v_add_f64 v[80:81], v[80:81], v[52:53]
	v_add_f64 v[82:83], v[82:83], v[54:55]
	v_mul_f64 v[149:150], v[131:132], s[22:23]
	v_mul_f64 v[151:152], v[129:130], s[22:23]
	;; [unrolled: 1-line block ×4, first 2 shown]
	v_fma_f64 v[121:122], v[125:126], s[16:17], -v[145:146]
	v_fma_f64 v[123:124], v[127:128], s[16:17], v[147:148]
	v_add_f64 v[157:158], v[44:45], v[157:158]
	v_add_f64 v[159:160], v[46:47], v[159:160]
	;; [unrolled: 1-line block ×22, first 2 shown]
	v_fma_f64 v[145:146], v[125:126], s[16:17], v[145:146]
	v_fma_f64 v[147:148], v[127:128], s[16:17], -v[147:148]
	v_fma_f64 v[177:178], v[125:126], s[24:25], -v[149:150]
	v_fma_f64 v[179:180], v[127:128], s[24:25], v[151:152]
	v_add_f64 v[48:49], v[121:122], v[157:158]
	v_add_f64 v[50:51], v[123:124], v[159:160]
	;; [unrolled: 1-line block ×4, first 2 shown]
	v_mul_f64 v[64:65], v[131:132], s[34:35]
	v_mul_f64 v[66:67], v[129:130], s[34:35]
	v_fma_f64 v[121:122], v[125:126], s[24:25], v[149:150]
	v_fma_f64 v[123:124], v[127:128], s[24:25], -v[151:152]
	v_fma_f64 v[149:150], v[125:126], s[26:27], v[153:154]
	v_fma_f64 v[151:152], v[127:128], s[26:27], -v[155:156]
	v_add_f64 v[80:81], v[145:146], v[117:118]
	v_add_f64 v[82:83], v[147:148], v[119:120]
	v_fma_f64 v[145:146], v[125:126], s[26:27], -v[153:154]
	v_fma_f64 v[147:148], v[127:128], s[26:27], v[155:156]
	v_fma_f64 v[153:154], v[125:126], s[20:21], -v[64:65]
	v_fma_f64 v[155:156], v[127:128], s[20:21], v[66:67]
	v_add_f64 v[137:138], v[149:150], v[137:138]
	v_add_f64 v[139:140], v[151:152], v[139:140]
	v_add_f64 v[149:150], v[78:79], -v[54:55]
	v_add_f64 v[151:152], v[76:77], -v[52:53]
	v_mul_f64 v[131:132], v[131:132], s[36:37]
	v_mul_f64 v[129:130], v[129:130], s[36:37]
	v_add_f64 v[121:122], v[121:122], v[133:134]
	v_add_f64 v[123:124], v[123:124], v[135:136]
	;; [unrolled: 1-line block ×6, first 2 shown]
	v_fma_f64 v[64:65], v[125:126], s[20:21], v[64:65]
	v_fma_f64 v[66:67], v[127:128], s[20:21], -v[66:67]
	v_add_f64 v[52:53], v[76:77], v[52:53]
	v_add_f64 v[54:55], v[78:79], v[54:55]
	v_mul_f64 v[76:77], v[149:150], s[18:19]
	v_mul_f64 v[78:79], v[151:152], s[18:19]
	v_fma_f64 v[153:154], v[125:126], s[8:9], -v[131:132]
	v_fma_f64 v[155:156], v[127:128], s[8:9], v[129:130]
	v_add_f64 v[64:65], v[64:65], v[141:142]
	v_add_f64 v[66:67], v[66:67], v[143:144]
	v_fma_f64 v[125:126], v[125:126], s[8:9], v[131:132]
	v_fma_f64 v[127:128], v[127:128], s[8:9], -v[129:130]
	v_fma_f64 v[129:130], v[52:53], s[20:21], -v[76:77]
	v_fma_f64 v[131:132], v[54:55], s[20:21], v[78:79]
	v_add_f64 v[141:142], v[153:154], v[173:174]
	v_add_f64 v[143:144], v[155:156], v[175:176]
	v_mul_f64 v[153:154], v[149:150], s[30:31]
	v_mul_f64 v[155:156], v[151:152], s[30:31]
	v_add_f64 v[117:118], v[177:178], v[161:162]
	v_add_f64 v[119:120], v[179:180], v[163:164]
	v_add_f64 v[86:87], v[125:126], v[86:87]
	v_add_f64 v[84:85], v[127:128], v[84:85]
	v_add_f64 v[48:49], v[129:130], v[48:49]
	v_add_f64 v[50:51], v[131:132], v[50:51]
	v_fma_f64 v[76:77], v[52:53], s[20:21], v[76:77]
	v_fma_f64 v[78:79], v[54:55], s[20:21], -v[78:79]
	v_fma_f64 v[125:126], v[52:53], s[26:27], -v[153:154]
	v_fma_f64 v[127:128], v[54:55], s[26:27], v[155:156]
	v_mul_f64 v[129:130], v[149:150], s[38:39]
	v_mul_f64 v[131:132], v[151:152], s[38:39]
	v_add_f64 v[76:77], v[76:77], v[80:81]
	v_add_f64 v[78:79], v[78:79], v[82:83]
	;; [unrolled: 1-line block ×4, first 2 shown]
	v_fma_f64 v[117:118], v[52:53], s[26:27], v[153:154]
	v_fma_f64 v[119:120], v[54:55], s[26:27], -v[155:156]
	v_fma_f64 v[125:126], v[52:53], s[16:17], -v[129:130]
	v_fma_f64 v[127:128], v[54:55], s[16:17], v[131:132]
	v_mul_f64 v[153:154], v[149:150], s[6:7]
	v_mul_f64 v[155:156], v[151:152], s[6:7]
	v_fma_f64 v[129:130], v[52:53], s[16:17], v[129:130]
	v_fma_f64 v[131:132], v[54:55], s[16:17], -v[131:132]
	v_add_f64 v[117:118], v[117:118], v[121:122]
	v_add_f64 v[119:120], v[119:120], v[123:124]
	;; [unrolled: 1-line block ×4, first 2 shown]
	v_fma_f64 v[125:126], v[52:53], s[8:9], -v[153:154]
	v_fma_f64 v[127:128], v[54:55], s[8:9], v[155:156]
	v_mul_f64 v[133:134], v[149:150], s[22:23]
	v_mul_f64 v[135:136], v[151:152], s[22:23]
	v_add_f64 v[129:130], v[129:130], v[137:138]
	v_add_f64 v[131:132], v[131:132], v[139:140]
	v_fma_f64 v[137:138], v[52:53], s[8:9], v[153:154]
	v_fma_f64 v[139:140], v[54:55], s[8:9], -v[155:156]
	v_add_f64 v[125:126], v[125:126], v[145:146]
	v_add_f64 v[127:128], v[127:128], v[147:148]
	v_add_f64 v[145:146], v[74:75], -v[58:59]
	v_add_f64 v[147:148], v[72:73], -v[56:57]
	v_fma_f64 v[149:150], v[52:53], s[24:25], -v[133:134]
	v_fma_f64 v[151:152], v[54:55], s[24:25], v[135:136]
	v_add_f64 v[56:57], v[72:73], v[56:57]
	v_add_f64 v[58:59], v[74:75], v[58:59]
	;; [unrolled: 1-line block ×4, first 2 shown]
	v_mul_f64 v[72:73], v[145:146], s[22:23]
	v_mul_f64 v[74:75], v[147:148], s[22:23]
	v_add_f64 v[137:138], v[149:150], v[141:142]
	v_add_f64 v[139:140], v[151:152], v[143:144]
	v_fma_f64 v[52:53], v[52:53], s[24:25], v[133:134]
	v_fma_f64 v[54:55], v[54:55], s[24:25], -v[135:136]
	v_mul_f64 v[133:134], v[145:146], s[34:35]
	v_mul_f64 v[135:136], v[147:148], s[34:35]
	v_fma_f64 v[141:142], v[56:57], s[24:25], -v[72:73]
	v_fma_f64 v[143:144], v[58:59], s[24:25], v[74:75]
	v_fma_f64 v[72:73], v[56:57], s[24:25], v[72:73]
	v_fma_f64 v[74:75], v[58:59], s[24:25], -v[74:75]
	v_add_f64 v[52:53], v[52:53], v[86:87]
	v_add_f64 v[54:55], v[54:55], v[84:85]
	v_fma_f64 v[84:85], v[56:57], s[20:21], -v[133:134]
	v_fma_f64 v[86:87], v[58:59], s[20:21], v[135:136]
	v_add_f64 v[48:49], v[141:142], v[48:49]
	v_add_f64 v[50:51], v[143:144], v[50:51]
	;; [unrolled: 1-line block ×4, first 2 shown]
	v_mul_f64 v[76:77], v[145:146], s[6:7]
	v_mul_f64 v[78:79], v[147:148], s[6:7]
	v_fma_f64 v[133:134], v[56:57], s[20:21], v[133:134]
	v_fma_f64 v[135:136], v[58:59], s[20:21], -v[135:136]
	v_add_f64 v[80:81], v[84:85], v[80:81]
	v_add_f64 v[82:83], v[86:87], v[82:83]
	v_mul_f64 v[84:85], v[145:146], s[28:29]
	v_mul_f64 v[86:87], v[147:148], s[28:29]
	v_fma_f64 v[141:142], v[56:57], s[8:9], -v[76:77]
	v_fma_f64 v[143:144], v[58:59], s[8:9], v[78:79]
	v_fma_f64 v[76:77], v[56:57], s[8:9], v[76:77]
	v_fma_f64 v[78:79], v[58:59], s[8:9], -v[78:79]
	v_add_f64 v[117:118], v[133:134], v[117:118]
	v_add_f64 v[119:120], v[135:136], v[119:120]
	v_mul_f64 v[133:134], v[145:146], s[38:39]
	v_mul_f64 v[135:136], v[147:148], s[38:39]
	v_fma_f64 v[149:150], v[56:57], s[26:27], -v[84:85]
	v_fma_f64 v[151:152], v[58:59], s[26:27], v[86:87]
	v_add_f64 v[76:77], v[76:77], v[129:130]
	v_add_f64 v[78:79], v[78:79], v[131:132]
	v_add_f64 v[129:130], v[70:71], -v[62:63]
	v_add_f64 v[131:132], v[68:69], -v[60:61]
	v_add_f64 v[121:122], v[141:142], v[121:122]
	v_add_f64 v[123:124], v[143:144], v[123:124]
	v_fma_f64 v[84:85], v[56:57], s[26:27], v[84:85]
	v_fma_f64 v[86:87], v[58:59], s[26:27], -v[86:87]
	v_add_f64 v[141:142], v[68:69], v[60:61]
	v_add_f64 v[143:144], v[70:71], v[62:63]
	v_mul_f64 v[60:61], v[129:130], s[28:29]
	v_mul_f64 v[62:63], v[131:132], s[28:29]
	v_fma_f64 v[68:69], v[56:57], s[16:17], -v[133:134]
	v_fma_f64 v[70:71], v[58:59], s[16:17], v[135:136]
	v_add_f64 v[84:85], v[84:85], v[64:65]
	v_add_f64 v[86:87], v[86:87], v[66:67]
	v_fma_f64 v[56:57], v[56:57], s[16:17], v[133:134]
	v_fma_f64 v[58:59], v[58:59], s[16:17], -v[135:136]
	v_fma_f64 v[64:65], v[141:142], s[26:27], -v[60:61]
	v_fma_f64 v[66:67], v[143:144], s[26:27], v[62:63]
	v_add_f64 v[133:134], v[68:69], v[137:138]
	v_add_f64 v[135:136], v[70:71], v[139:140]
	v_mul_f64 v[68:69], v[129:130], s[36:37]
	v_mul_f64 v[70:71], v[131:132], s[36:37]
	v_add_f64 v[137:138], v[56:57], v[52:53]
	v_add_f64 v[139:140], v[58:59], v[54:55]
	;; [unrolled: 1-line block ×4, first 2 shown]
	v_fma_f64 v[52:53], v[141:142], s[26:27], v[60:61]
	v_fma_f64 v[54:55], v[143:144], s[26:27], -v[62:63]
	v_fma_f64 v[56:57], v[141:142], s[8:9], -v[68:69]
	v_fma_f64 v[58:59], v[143:144], s[8:9], v[70:71]
	v_mul_f64 v[64:65], v[129:130], s[22:23]
	v_mul_f64 v[66:67], v[131:132], s[22:23]
	v_fma_f64 v[60:61], v[141:142], s[8:9], v[68:69]
	v_fma_f64 v[62:63], v[143:144], s[8:9], -v[70:71]
	v_add_f64 v[52:53], v[52:53], v[72:73]
	v_add_f64 v[54:55], v[54:55], v[74:75]
	v_add_f64 v[56:57], v[56:57], v[80:81]
	v_add_f64 v[58:59], v[58:59], v[82:83]
	v_fma_f64 v[68:69], v[141:142], s[24:25], -v[64:65]
	v_fma_f64 v[70:71], v[143:144], s[24:25], v[66:67]
	v_fma_f64 v[72:73], v[141:142], s[24:25], v[64:65]
	v_fma_f64 v[74:75], v[143:144], s[24:25], -v[66:67]
	v_mul_f64 v[80:81], v[129:130], s[38:39]
	v_mul_f64 v[82:83], v[131:132], s[38:39]
	v_add_f64 v[60:61], v[60:61], v[117:118]
	v_add_f64 v[62:63], v[62:63], v[119:120]
	v_mul_f64 v[117:118], v[129:130], s[18:19]
	v_mul_f64 v[119:120], v[131:132], s[18:19]
	v_add_f64 v[125:126], v[149:150], v[125:126]
	v_add_f64 v[127:128], v[151:152], v[127:128]
	;; [unrolled: 1-line block ×6, first 2 shown]
	v_fma_f64 v[72:73], v[141:142], s[16:17], -v[80:81]
	v_fma_f64 v[74:75], v[143:144], s[16:17], v[82:83]
	v_fma_f64 v[76:77], v[141:142], s[16:17], v[80:81]
	v_fma_f64 v[78:79], v[143:144], s[16:17], -v[82:83]
	v_fma_f64 v[80:81], v[141:142], s[20:21], -v[117:118]
	v_fma_f64 v[82:83], v[143:144], s[20:21], v[119:120]
	v_fma_f64 v[117:118], v[141:142], s[20:21], v[117:118]
	v_fma_f64 v[119:120], v[143:144], s[20:21], -v[119:120]
	v_add_f64 v[72:73], v[72:73], v[125:126]
	v_add_f64 v[74:75], v[74:75], v[127:128]
	;; [unrolled: 1-line block ×8, first 2 shown]
	ds_write_b128 v108, v[44:47]
	ds_write_b128 v108, v[48:51] offset:1344
	ds_write_b128 v108, v[56:59] offset:2688
	;; [unrolled: 1-line block ×10, first 2 shown]
	s_and_saveexec_b64 s[40:41], s[2:3]
	s_cbranch_execz .LBB0_23
; %bb.22:
	v_subrev_u32_e32 v44, 40, v90
	v_cndmask_b32_e64 v44, v44, v94, s[2:3]
	v_mul_i32_i24_e32 v44, 10, v44
	v_mov_b32_e32 v45, 0
	v_lshlrev_b64 v[44:45], 4, v[44:45]
	v_mov_b32_e32 v46, s13
	v_add_co_u32_e64 v44, s[2:3], s12, v44
	v_addc_co_u32_e64 v45, s[2:3], v46, v45, s[2:3]
	global_load_dwordx4 v[46:49], v[44:45], off offset:1376
	global_load_dwordx4 v[50:53], v[44:45], off offset:1392
	;; [unrolled: 1-line block ×10, first 2 shown]
	s_mov_b32 s3, 0x3fe82f19
	s_mov_b32 s2, s22
	s_waitcnt vmcnt(9)
	v_mul_f64 v[44:45], v[24:25], v[48:49]
	s_waitcnt vmcnt(8)
	v_mul_f64 v[86:87], v[28:29], v[52:53]
	;; [unrolled: 2-line block ×3, first 2 shown]
	v_mul_f64 v[56:57], v[22:23], v[56:57]
	v_mul_f64 v[48:49], v[26:27], v[48:49]
	s_waitcnt vmcnt(4)
	v_mul_f64 v[123:124], v[36:37], v[68:69]
	v_mul_f64 v[68:69], v[38:39], v[68:69]
	;; [unrolled: 1-line block ×3, first 2 shown]
	s_waitcnt vmcnt(1)
	v_mul_f64 v[129:130], v[8:9], v[80:81]
	s_waitcnt vmcnt(0)
	v_mul_f64 v[131:132], v[0:1], v[84:85]
	v_mul_f64 v[119:120], v[32:33], v[60:61]
	;; [unrolled: 1-line block ×9, first 2 shown]
	v_fma_f64 v[30:31], v[30:31], v[50:51], v[86:87]
	v_fma_f64 v[86:87], v[22:23], v[54:55], v[117:118]
	v_fma_f64 v[56:57], v[20:21], v[54:55], -v[56:57]
	v_fma_f64 v[20:21], v[38:39], v[66:67], v[123:124]
	v_fma_f64 v[22:23], v[36:37], v[66:67], -v[68:69]
	v_fma_f64 v[66:67], v[10:11], v[78:79], v[129:130]
	v_fma_f64 v[2:3], v[2:3], v[82:83], v[131:132]
	v_mul_f64 v[72:73], v[18:19], v[72:73]
	v_mul_f64 v[76:77], v[42:43], v[76:77]
	v_fma_f64 v[44:45], v[26:27], v[46:47], v[44:45]
	v_fma_f64 v[46:47], v[24:25], v[46:47], -v[48:49]
	v_fma_f64 v[24:25], v[34:35], v[58:59], v[119:120]
	v_fma_f64 v[26:27], v[32:33], v[58:59], -v[60:61]
	;; [unrolled: 2-line block ×3, first 2 shown]
	v_fma_f64 v[58:59], v[18:19], v[70:71], v[125:126]
	v_fma_f64 v[12:13], v[42:43], v[74:75], v[127:128]
	v_fma_f64 v[68:69], v[8:9], v[78:79], -v[80:81]
	v_fma_f64 v[0:1], v[0:1], v[82:83], -v[84:85]
	v_add_f64 v[82:83], v[66:67], v[2:3]
	v_add_f64 v[133:134], v[66:67], -v[2:3]
	v_fma_f64 v[28:29], v[28:29], v[50:51], -v[52:53]
	v_fma_f64 v[64:65], v[16:17], v[70:71], -v[72:73]
	;; [unrolled: 1-line block ×3, first 2 shown]
	v_add_f64 v[78:79], v[58:59], v[12:13]
	v_add_f64 v[129:130], v[58:59], -v[12:13]
	v_add_f64 v[84:85], v[68:69], -v[0:1]
	v_add_f64 v[131:132], v[68:69], v[0:1]
	v_mul_f64 v[38:39], v[82:83], s[26:27]
	v_mul_f64 v[52:53], v[133:134], s[28:29]
	;; [unrolled: 1-line block ×3, first 2 shown]
	v_add_f64 v[74:75], v[60:61], v[20:21]
	v_add_f64 v[80:81], v[64:65], -v[14:15]
	v_add_f64 v[125:126], v[60:61], -v[20:21]
	v_add_f64 v[127:128], v[64:65], v[14:15]
	v_mul_f64 v[36:37], v[78:79], s[8:9]
	v_mul_f64 v[50:51], v[129:130], s[36:37]
	;; [unrolled: 1-line block ×3, first 2 shown]
	v_fma_f64 v[159:160], v[84:85], s[30:31], v[38:39]
	v_fma_f64 v[169:170], v[131:132], s[26:27], v[52:53]
	v_fma_f64 v[38:39], v[84:85], s[28:29], v[38:39]
	v_fma_f64 v[52:53], v[131:132], s[26:27], -v[52:53]
	v_fma_f64 v[173:174], v[84:85], s[2:3], v[141:142]
	v_add_f64 v[72:73], v[86:87], v[24:25]
	v_add_f64 v[76:77], v[62:63], -v[22:23]
	v_add_f64 v[121:122], v[86:87], -v[24:25]
	v_add_f64 v[123:124], v[62:63], v[22:23]
	v_mul_f64 v[34:35], v[74:75], s[24:25]
	v_mul_f64 v[48:49], v[125:126], s[22:23]
	;; [unrolled: 1-line block ×4, first 2 shown]
	v_fma_f64 v[157:158], v[80:81], s[6:7], v[36:37]
	v_fma_f64 v[167:168], v[127:128], s[8:9], v[50:51]
	;; [unrolled: 1-line block ×3, first 2 shown]
	v_fma_f64 v[50:51], v[127:128], s[8:9], -v[50:51]
	v_add_f64 v[159:160], v[6:7], v[159:160]
	v_add_f64 v[169:170], v[4:5], v[169:170]
	;; [unrolled: 1-line block ×4, first 2 shown]
	v_fma_f64 v[179:180], v[80:81], s[18:19], v[139:140]
	v_add_f64 v[173:174], v[6:7], v[173:174]
	v_add_f64 v[70:71], v[44:45], v[30:31]
	v_add_f64 v[16:17], v[56:57], -v[26:27]
	v_add_f64 v[117:118], v[44:45], -v[30:31]
	v_add_f64 v[119:120], v[56:57], v[26:27]
	v_mul_f64 v[32:33], v[72:73], s[16:17]
	v_mul_f64 v[42:43], v[121:122], s[38:39]
	;; [unrolled: 1-line block ×4, first 2 shown]
	v_fma_f64 v[155:156], v[76:77], s[2:3], v[34:35]
	v_fma_f64 v[165:166], v[123:124], s[24:25], v[48:49]
	;; [unrolled: 1-line block ×3, first 2 shown]
	v_fma_f64 v[48:49], v[123:124], s[24:25], -v[48:49]
	v_fma_f64 v[177:178], v[76:77], s[36:37], v[137:138]
	v_add_f64 v[157:158], v[157:158], v[159:160]
	v_add_f64 v[159:160], v[167:168], v[169:170]
	;; [unrolled: 1-line block ×4, first 2 shown]
	v_fma_f64 v[167:168], v[131:132], s[24:25], v[149:150]
	v_add_f64 v[169:170], v[179:180], v[173:174]
	v_add_f64 v[8:9], v[46:47], -v[28:29]
	v_add_f64 v[10:11], v[46:47], v[28:29]
	v_mul_f64 v[18:19], v[70:71], s[20:21]
	v_mul_f64 v[40:41], v[117:118], s[18:19]
	;; [unrolled: 1-line block ×4, first 2 shown]
	v_fma_f64 v[153:154], v[16:17], s[14:15], v[32:33]
	v_fma_f64 v[163:164], v[119:120], s[16:17], v[42:43]
	;; [unrolled: 1-line block ×3, first 2 shown]
	v_fma_f64 v[42:43], v[119:120], s[16:17], -v[42:43]
	v_fma_f64 v[175:176], v[16:17], s[30:31], v[135:136]
	v_fma_f64 v[52:53], v[127:128], s[20:21], v[147:148]
	v_add_f64 v[155:156], v[155:156], v[157:158]
	v_add_f64 v[157:158], v[165:166], v[159:160]
	;; [unrolled: 1-line block ×4, first 2 shown]
	v_fma_f64 v[48:49], v[80:81], s[34:35], v[139:140]
	v_fma_f64 v[38:39], v[84:85], s[22:23], v[141:142]
	v_add_f64 v[139:140], v[4:5], v[167:168]
	v_add_f64 v[141:142], v[177:178], v[169:170]
	v_mul_f64 v[143:144], v[121:122], s[28:29]
	v_fma_f64 v[151:152], v[8:9], s[34:35], v[18:19]
	v_fma_f64 v[161:162], v[10:11], s[20:21], v[40:41]
	;; [unrolled: 1-line block ×3, first 2 shown]
	v_fma_f64 v[40:41], v[10:11], s[20:21], -v[40:41]
	v_fma_f64 v[171:172], v[8:9], s[14:15], v[54:55]
	v_fma_f64 v[50:51], v[123:124], s[8:9], v[145:146]
	v_add_f64 v[153:154], v[153:154], v[155:156]
	v_add_f64 v[155:156], v[163:164], v[157:158]
	;; [unrolled: 1-line block ×4, first 2 shown]
	v_fma_f64 v[149:150], v[131:132], s[24:25], -v[149:150]
	v_add_f64 v[42:43], v[6:7], v[38:39]
	v_add_f64 v[52:53], v[52:53], v[139:140]
	;; [unrolled: 1-line block ×3, first 2 shown]
	v_fma_f64 v[135:136], v[16:17], s[28:29], v[135:136]
	v_mul_f64 v[141:142], v[82:83], s[20:21]
	v_add_f64 v[38:39], v[18:19], v[157:158]
	v_add_f64 v[36:37], v[40:41], v[36:37]
	v_fma_f64 v[18:19], v[76:77], s[6:7], v[137:138]
	v_add_f64 v[40:41], v[48:49], v[42:43]
	v_fma_f64 v[137:138], v[119:120], s[26:27], v[143:144]
	v_add_f64 v[50:51], v[50:51], v[52:53]
	v_add_f64 v[42:43], v[171:172], v[139:140]
	v_fma_f64 v[52:53], v[127:128], s[20:21], -v[147:148]
	v_add_f64 v[139:140], v[4:5], v[149:150]
	v_mul_f64 v[147:148], v[129:130], s[30:31]
	v_add_f64 v[34:35], v[151:152], v[153:154]
	v_add_f64 v[18:19], v[18:19], v[40:41]
	;; [unrolled: 1-line block ×4, first 2 shown]
	v_fma_f64 v[137:138], v[123:124], s[8:9], -v[145:146]
	v_mul_f64 v[145:146], v[133:134], s[18:19]
	v_add_f64 v[52:53], v[52:53], v[139:140]
	v_fma_f64 v[139:140], v[84:85], s[34:35], v[141:142]
	v_mul_f64 v[153:154], v[125:126], s[38:39]
	v_add_f64 v[18:19], v[135:136], v[18:19]
	v_mul_f64 v[135:136], v[78:79], s[26:27]
	v_fma_f64 v[155:156], v[127:128], s[26:27], v[147:148]
	v_mul_f64 v[157:158], v[72:73], s[8:9]
	v_fma_f64 v[149:150], v[131:132], s[20:21], v[145:146]
	v_add_f64 v[52:53], v[137:138], v[52:53]
	v_fma_f64 v[137:138], v[84:85], s[18:19], v[141:142]
	v_mul_f64 v[141:142], v[74:75], s[16:17]
	v_add_f64 v[139:140], v[6:7], v[139:140]
	v_fma_f64 v[151:152], v[80:81], s[28:29], v[135:136]
	v_fma_f64 v[135:136], v[80:81], s[30:31], v[135:136]
	v_fma_f64 v[161:162], v[123:124], s[16:17], v[153:154]
	v_add_f64 v[149:150], v[4:5], v[149:150]
	v_mul_f64 v[48:49], v[117:118], s[38:39]
	v_add_f64 v[137:138], v[6:7], v[137:138]
	v_fma_f64 v[159:160], v[76:77], s[14:15], v[141:142]
	v_fma_f64 v[141:142], v[76:77], s[38:39], v[141:142]
	v_add_f64 v[139:140], v[151:152], v[139:140]
	v_mul_f64 v[151:152], v[121:122], s[6:7]
	v_fma_f64 v[143:144], v[119:120], s[26:27], -v[143:144]
	v_add_f64 v[149:150], v[155:156], v[149:150]
	v_fma_f64 v[155:156], v[16:17], s[36:37], v[157:158]
	v_add_f64 v[135:136], v[135:136], v[137:138]
	v_mul_f64 v[137:138], v[70:71], s[24:25]
	v_fma_f64 v[157:158], v[16:17], s[6:7], v[157:158]
	v_add_f64 v[139:140], v[159:160], v[139:140]
	v_mul_f64 v[159:160], v[117:118], s[22:23]
	v_fma_f64 v[163:164], v[119:120], s[8:9], v[151:152]
	v_add_f64 v[149:150], v[161:162], v[149:150]
	v_fma_f64 v[40:41], v[10:11], s[16:17], v[48:49]
	v_add_f64 v[135:136], v[141:142], v[135:136]
	v_fma_f64 v[54:55], v[8:9], s[38:39], v[54:55]
	v_fma_f64 v[48:49], v[10:11], s[16:17], -v[48:49]
	v_add_f64 v[52:53], v[143:144], v[52:53]
	v_fma_f64 v[141:142], v[8:9], s[2:3], v[137:138]
	v_fma_f64 v[143:144], v[10:11], s[24:25], v[159:160]
	v_add_f64 v[149:150], v[163:164], v[149:150]
	v_fma_f64 v[137:138], v[8:9], s[22:23], v[137:138]
	v_add_f64 v[135:136], v[157:158], v[135:136]
	v_fma_f64 v[145:146], v[131:132], s[20:21], -v[145:146]
	v_add_f64 v[40:41], v[40:41], v[50:51]
	v_add_f64 v[50:51], v[54:55], v[18:19]
	;; [unrolled: 1-line block ×5, first 2 shown]
	v_mul_f64 v[155:156], v[82:83], s[16:17]
	v_add_f64 v[18:19], v[137:138], v[135:136]
	v_fma_f64 v[137:138], v[127:128], s[26:27], -v[147:148]
	v_add_f64 v[143:144], v[4:5], v[145:146]
	v_mul_f64 v[135:136], v[133:134], s[14:15]
	v_fma_f64 v[147:148], v[123:124], s[16:17], -v[153:154]
	v_add_f64 v[66:67], v[6:7], v[66:67]
	v_add_f64 v[68:69], v[4:5], v[68:69]
	;; [unrolled: 1-line block ×3, first 2 shown]
	v_mul_f64 v[139:140], v[78:79], s[24:25]
	v_mul_f64 v[149:150], v[129:130], s[22:23]
	v_add_f64 v[137:138], v[137:138], v[143:144]
	v_fma_f64 v[153:154], v[131:132], s[16:17], v[135:136]
	v_fma_f64 v[141:142], v[84:85], s[38:39], v[155:156]
	v_add_f64 v[66:67], v[66:67], v[58:59]
	v_add_f64 v[64:65], v[68:69], v[64:65]
	v_fma_f64 v[145:146], v[10:11], s[24:25], -v[159:160]
	v_mul_f64 v[157:158], v[74:75], s[26:27]
	v_fma_f64 v[159:160], v[80:81], s[2:3], v[139:140]
	v_add_f64 v[137:138], v[147:148], v[137:138]
	v_fma_f64 v[147:148], v[84:85], s[14:15], v[155:156]
	v_fma_f64 v[161:162], v[127:128], s[24:25], v[149:150]
	v_add_f64 v[153:154], v[4:5], v[153:154]
	v_fma_f64 v[139:140], v[80:81], s[22:23], v[139:140]
	v_add_f64 v[60:61], v[66:67], v[60:61]
	v_add_f64 v[62:63], v[64:65], v[62:63]
	;; [unrolled: 1-line block ×3, first 2 shown]
	v_fma_f64 v[143:144], v[119:120], s[8:9], -v[151:152]
	v_add_f64 v[147:148], v[6:7], v[147:148]
	v_mul_f64 v[151:152], v[125:126], s[30:31]
	v_fma_f64 v[165:166], v[76:77], s[28:29], v[157:158]
	v_add_f64 v[153:154], v[161:162], v[153:154]
	v_mul_f64 v[161:162], v[70:71], s[8:9]
	v_fma_f64 v[157:158], v[76:77], s[30:31], v[157:158]
	v_fma_f64 v[135:136], v[131:132], s[16:17], -v[135:136]
	v_mul_f64 v[82:83], v[82:83], s[8:9]
	v_add_f64 v[139:140], v[139:140], v[147:148]
	v_add_f64 v[60:61], v[60:61], v[86:87]
	;; [unrolled: 1-line block ×3, first 2 shown]
	v_mul_f64 v[62:63], v[133:134], s[6:7]
	v_mul_f64 v[163:164], v[72:73], s[20:21]
	v_add_f64 v[141:142], v[159:160], v[141:142]
	v_fma_f64 v[159:160], v[123:124], s[26:27], v[151:152]
	v_add_f64 v[137:138], v[143:144], v[137:138]
	v_fma_f64 v[143:144], v[8:9], s[6:7], v[161:162]
	v_fma_f64 v[149:150], v[127:128], s[24:25], -v[149:150]
	v_add_f64 v[135:136], v[4:5], v[135:136]
	v_add_f64 v[139:140], v[157:158], v[139:140]
	v_fma_f64 v[157:158], v[8:9], s[36:37], v[161:162]
	v_mul_f64 v[78:79], v[78:79], s[16:17]
	v_fma_f64 v[161:162], v[84:85], s[36:37], v[82:83]
	v_fma_f64 v[82:83], v[84:85], s[6:7], v[82:83]
	v_add_f64 v[44:45], v[60:61], v[44:45]
	v_add_f64 v[46:47], v[56:57], v[46:47]
	v_mul_f64 v[84:85], v[129:130], s[14:15]
	v_fma_f64 v[56:57], v[131:132], s[8:9], -v[62:63]
	v_add_f64 v[153:154], v[159:160], v[153:154]
	v_fma_f64 v[159:160], v[16:17], s[34:35], v[163:164]
	v_add_f64 v[135:136], v[149:150], v[135:136]
	v_mul_f64 v[74:75], v[74:75], s[20:21]
	v_fma_f64 v[68:69], v[80:81], s[38:39], v[78:79]
	v_add_f64 v[149:150], v[6:7], v[161:162]
	v_fma_f64 v[62:63], v[131:132], s[8:9], v[62:63]
	v_fma_f64 v[78:79], v[80:81], s[14:15], v[78:79]
	v_add_f64 v[6:7], v[6:7], v[82:83]
	v_add_f64 v[30:31], v[44:45], v[30:31]
	;; [unrolled: 1-line block ×3, first 2 shown]
	v_mul_f64 v[60:61], v[125:126], s[18:19]
	v_fma_f64 v[80:81], v[127:128], s[16:17], -v[84:85]
	v_add_f64 v[44:45], v[4:5], v[56:57]
	v_add_f64 v[139:140], v[159:160], v[139:140]
	v_mul_f64 v[72:73], v[72:73], s[24:25]
	v_fma_f64 v[46:47], v[127:128], s[16:17], v[84:85]
	v_add_f64 v[4:5], v[4:5], v[62:63]
	v_fma_f64 v[56:57], v[76:77], s[18:19], v[74:75]
	v_add_f64 v[6:7], v[78:79], v[6:7]
	v_add_f64 v[24:25], v[30:31], v[24:25]
	;; [unrolled: 1-line block ×3, first 2 shown]
	v_fma_f64 v[64:65], v[76:77], s[34:35], v[74:75]
	v_add_f64 v[66:67], v[68:69], v[149:150]
	v_mul_f64 v[86:87], v[121:122], s[22:23]
	v_fma_f64 v[62:63], v[123:124], s[20:21], -v[60:61]
	v_add_f64 v[28:29], v[80:81], v[44:45]
	v_mul_f64 v[155:156], v[121:122], s[34:35]
	v_fma_f64 v[151:152], v[123:124], s[26:27], -v[151:152]
	v_fma_f64 v[167:168], v[16:17], s[18:19], v[163:164]
	v_add_f64 v[58:59], v[157:158], v[139:140]
	v_mul_f64 v[70:71], v[70:71], s[26:27]
	v_fma_f64 v[139:140], v[16:17], s[2:3], v[72:73]
	v_fma_f64 v[30:31], v[123:124], s[20:21], v[60:61]
	v_add_f64 v[4:5], v[46:47], v[4:5]
	v_fma_f64 v[16:17], v[16:17], s[22:23], v[72:73]
	v_add_f64 v[6:7], v[56:57], v[6:7]
	v_add_f64 v[20:21], v[24:25], v[20:21]
	;; [unrolled: 1-line block ×4, first 2 shown]
	v_mul_f64 v[66:67], v[117:118], s[28:29]
	v_fma_f64 v[44:45], v[119:120], s[24:25], -v[86:87]
	v_add_f64 v[24:25], v[62:63], v[28:29]
	v_add_f64 v[141:142], v[165:166], v[141:142]
	v_mul_f64 v[165:166], v[117:118], s[36:37]
	v_fma_f64 v[169:170], v[119:120], s[20:21], v[155:156]
	v_fma_f64 v[155:156], v[119:120], s[20:21], -v[155:156]
	v_add_f64 v[135:136], v[151:152], v[135:136]
	v_fma_f64 v[26:27], v[119:120], s[24:25], v[86:87]
	v_add_f64 v[4:5], v[30:31], v[4:5]
	v_fma_f64 v[28:29], v[8:9], s[28:29], v[70:71]
	v_add_f64 v[6:7], v[16:17], v[6:7]
	v_add_f64 v[12:13], v[20:21], v[12:13]
	;; [unrolled: 1-line block ×3, first 2 shown]
	v_fma_f64 v[16:17], v[10:11], s[26:27], -v[66:67]
	v_add_f64 v[20:21], v[44:45], v[24:25]
	v_fma_f64 v[68:69], v[10:11], s[8:9], -v[165:166]
	v_add_f64 v[135:136], v[155:156], v[135:136]
	v_add_f64 v[141:142], v[167:168], v[141:142]
	v_fma_f64 v[147:148], v[10:11], s[8:9], v[165:166]
	v_add_f64 v[153:154], v[169:170], v[153:154]
	v_fma_f64 v[22:23], v[8:9], s[30:31], v[70:71]
	;; [unrolled: 2-line block ×3, first 2 shown]
	v_add_f64 v[26:27], v[26:27], v[4:5]
	v_add_f64 v[4:5], v[28:29], v[6:7]
	v_add_f64 v[8:9], v[12:13], v[2:3]
	v_add_f64 v[6:7], v[14:15], v[0:1]
	v_add_f64 v[2:3], v[16:17], v[20:21]
	v_add_f64 v[56:57], v[68:69], v[135:136]
	v_add_f64 v[16:17], v[145:146], v[137:138]
	v_add_f64 v[12:13], v[143:144], v[141:142]
	v_add_f64 v[10:11], v[147:148], v[153:154]
	v_add_f64 v[22:23], v[22:23], v[24:25]
	v_add_f64 v[20:21], v[30:31], v[26:27]
	ds_write_b128 v108, v[6:9] offset:704
	ds_write_b128 v108, v[2:5] offset:2048
	;; [unrolled: 1-line block ×11, first 2 shown]
.LBB0_23:
	s_or_b64 exec, exec, s[40:41]
	s_waitcnt lgkmcnt(0)
	; wave barrier
	s_waitcnt lgkmcnt(0)
	ds_read_b128 v[4:7], v108
	s_add_u32 s8, s12, 0x39a0
	s_addc_u32 s9, s13, 0
	v_sub_u32_e32 v10, 0, v91
	v_cmp_ne_u32_e64 s[2:3], 0, v90
                                        ; implicit-def: $vgpr2_vgpr3
                                        ; implicit-def: $vgpr8_vgpr9
	s_and_saveexec_b64 s[6:7], s[2:3]
	s_xor_b64 s[6:7], exec, s[6:7]
	s_cbranch_execz .LBB0_25
; %bb.24:
	v_mov_b32_e32 v91, 0
	v_lshlrev_b64 v[0:1], 4, v[90:91]
	v_mov_b32_e32 v2, s9
	v_add_co_u32_e64 v0, s[2:3], s8, v0
	v_addc_co_u32_e64 v1, s[2:3], v2, v1, s[2:3]
	global_load_dwordx4 v[11:14], v[0:1], off
	ds_read_b128 v[0:3], v10 offset:14784
	s_waitcnt lgkmcnt(0)
	v_add_f64 v[8:9], v[4:5], -v[0:1]
	v_add_f64 v[15:16], v[6:7], v[2:3]
	v_add_f64 v[2:3], v[6:7], -v[2:3]
	v_add_f64 v[0:1], v[4:5], v[0:1]
	v_mul_f64 v[6:7], v[8:9], 0.5
	v_mul_f64 v[4:5], v[15:16], 0.5
	;; [unrolled: 1-line block ×3, first 2 shown]
	s_waitcnt vmcnt(0)
	v_mul_f64 v[8:9], v[6:7], v[13:14]
	v_fma_f64 v[15:16], v[4:5], v[13:14], v[2:3]
	v_fma_f64 v[2:3], v[4:5], v[13:14], -v[2:3]
	v_fma_f64 v[17:18], v[0:1], 0.5, v[8:9]
	v_fma_f64 v[0:1], v[0:1], 0.5, -v[8:9]
	v_fma_f64 v[8:9], -v[11:12], v[6:7], v[15:16]
	v_fma_f64 v[2:3], -v[11:12], v[6:7], v[2:3]
	v_fma_f64 v[13:14], v[4:5], v[11:12], v[17:18]
	v_fma_f64 v[0:1], -v[4:5], v[11:12], v[0:1]
                                        ; implicit-def: $vgpr4_vgpr5
	ds_write_b64 v108, v[13:14]
.LBB0_25:
	s_or_saveexec_b64 s[2:3], s[6:7]
	v_sub_u32_e32 v11, 0, v95
	s_xor_b64 exec, exec, s[2:3]
	s_cbranch_execz .LBB0_27
; %bb.26:
	s_waitcnt lgkmcnt(0)
	v_add_f64 v[2:3], v[4:5], v[6:7]
	v_mov_b32_e32 v14, 0
	ds_read_b64 v[12:13], v14 offset:7400
	v_add_f64 v[0:1], v[4:5], -v[6:7]
	v_mov_b32_e32 v8, 0
	v_mov_b32_e32 v9, 0
	s_waitcnt lgkmcnt(0)
	v_xor_b32_e32 v13, 0x80000000, v13
	ds_write_b64 v14, v[12:13] offset:7400
	ds_write_b64 v108, v[2:3]
	v_mov_b32_e32 v2, v8
	v_mov_b32_e32 v3, v9
.LBB0_27:
	s_or_b64 exec, exec, s[2:3]
	v_mov_b32_e32 v95, 0
	s_waitcnt lgkmcnt(0)
	v_lshlrev_b64 v[4:5], 4, v[94:95]
	v_mov_b32_e32 v6, s9
	v_add_co_u32_e64 v4, s[2:3], s8, v4
	v_addc_co_u32_e64 v5, s[2:3], v6, v5, s[2:3]
	global_load_dwordx4 v[4:7], v[4:5], off
	v_mov_b32_e32 v105, v95
	v_lshlrev_b64 v[12:13], 4, v[104:105]
	v_mov_b32_e32 v14, s9
	v_add_co_u32_e64 v12, s[2:3], s8, v12
	v_addc_co_u32_e64 v13, s[2:3], v14, v13, s[2:3]
	global_load_dwordx4 v[12:15], v[12:13], off
	ds_write_b64 v108, v[8:9] offset:8
	ds_write_b128 v10, v[0:3] offset:14784
	ds_read_b128 v[0:3], v112
	ds_read_b128 v[16:19], v10 offset:14080
	v_mov_b32_e32 v104, v95
	v_mov_b32_e32 v28, s9
	v_add_u32_e32 v11, v107, v11
	s_waitcnt lgkmcnt(0)
	v_add_f64 v[8:9], v[0:1], -v[16:17]
	v_add_f64 v[20:21], v[2:3], v[18:19]
	v_add_f64 v[2:3], v[2:3], -v[18:19]
	v_add_f64 v[0:1], v[0:1], v[16:17]
	v_lshlrev_b64 v[16:17], 4, v[103:104]
	v_mov_b32_e32 v103, v95
	v_mul_f64 v[18:19], v[8:9], 0.5
	v_mul_f64 v[20:21], v[20:21], 0.5
	;; [unrolled: 1-line block ×3, first 2 shown]
	s_waitcnt vmcnt(1)
	v_mul_f64 v[8:9], v[18:19], v[6:7]
	v_fma_f64 v[22:23], v[20:21], v[6:7], v[2:3]
	v_fma_f64 v[6:7], v[20:21], v[6:7], -v[2:3]
	v_fma_f64 v[24:25], v[0:1], 0.5, v[8:9]
	v_fma_f64 v[26:27], v[0:1], 0.5, -v[8:9]
	v_add_co_u32_e64 v0, s[2:3], s8, v16
	v_addc_co_u32_e64 v1, s[2:3], v28, v17, s[2:3]
	global_load_dwordx4 v[0:3], v[0:1], off
	v_fma_f64 v[8:9], -v[4:5], v[18:19], v[22:23]
	v_fma_f64 v[18:19], -v[4:5], v[18:19], v[6:7]
	v_fma_f64 v[6:7], v[20:21], v[4:5], v[24:25]
	v_fma_f64 v[16:17], -v[20:21], v[4:5], v[26:27]
	ds_write_b128 v112, v[6:9]
	ds_write_b128 v10, v[16:19] offset:14080
	ds_read_b128 v[4:7], v111
	ds_read_b128 v[16:19], v10 offset:13376
	s_waitcnt lgkmcnt(0)
	v_add_f64 v[8:9], v[4:5], -v[16:17]
	v_add_f64 v[20:21], v[6:7], v[18:19]
	v_add_f64 v[6:7], v[6:7], -v[18:19]
	v_add_f64 v[4:5], v[4:5], v[16:17]
	v_mul_f64 v[8:9], v[8:9], 0.5
	v_mul_f64 v[18:19], v[20:21], 0.5
	v_mul_f64 v[6:7], v[6:7], 0.5
	v_lshlrev_b64 v[20:21], 4, v[102:103]
	v_mov_b32_e32 v102, v95
	s_waitcnt vmcnt(1)
	v_mul_f64 v[16:17], v[8:9], v[14:15]
	v_fma_f64 v[22:23], v[18:19], v[14:15], v[6:7]
	v_fma_f64 v[14:15], v[18:19], v[14:15], -v[6:7]
	v_fma_f64 v[24:25], v[4:5], 0.5, v[16:17]
	v_fma_f64 v[26:27], v[4:5], 0.5, -v[16:17]
	v_add_co_u32_e64 v4, s[2:3], s8, v20
	v_addc_co_u32_e64 v5, s[2:3], v28, v21, s[2:3]
	global_load_dwordx4 v[4:7], v[4:5], off
	v_fma_f64 v[16:17], -v[12:13], v[8:9], v[22:23]
	v_fma_f64 v[20:21], -v[12:13], v[8:9], v[14:15]
	v_fma_f64 v[14:15], v[18:19], v[12:13], v[24:25]
	v_fma_f64 v[18:19], -v[18:19], v[12:13], v[26:27]
	ds_write_b128 v111, v[14:17]
	ds_write_b128 v10, v[18:21] offset:13376
	ds_read_b128 v[12:15], v110
	ds_read_b128 v[16:19], v10 offset:12672
	s_waitcnt lgkmcnt(0)
	v_add_f64 v[8:9], v[12:13], -v[16:17]
	v_add_f64 v[20:21], v[14:15], v[18:19]
	v_add_f64 v[14:15], v[14:15], -v[18:19]
	v_add_f64 v[12:13], v[12:13], v[16:17]
	v_lshlrev_b64 v[18:19], 4, v[101:102]
	v_mov_b32_e32 v101, v95
	v_mul_f64 v[8:9], v[8:9], 0.5
	v_mul_f64 v[20:21], v[20:21], 0.5
	v_mul_f64 v[14:15], v[14:15], 0.5
	s_waitcnt vmcnt(1)
	v_mul_f64 v[16:17], v[8:9], v[2:3]
	v_fma_f64 v[22:23], v[20:21], v[2:3], v[14:15]
	v_fma_f64 v[2:3], v[20:21], v[2:3], -v[14:15]
	v_fma_f64 v[24:25], v[12:13], 0.5, v[16:17]
	v_fma_f64 v[26:27], v[12:13], 0.5, -v[16:17]
	v_add_co_u32_e64 v12, s[2:3], s8, v18
	v_addc_co_u32_e64 v13, s[2:3], v28, v19, s[2:3]
	global_load_dwordx4 v[12:15], v[12:13], off
	v_fma_f64 v[18:19], -v[0:1], v[8:9], v[22:23]
	v_fma_f64 v[16:17], v[20:21], v[0:1], v[24:25]
	v_fma_f64 v[2:3], -v[0:1], v[8:9], v[2:3]
	v_fma_f64 v[0:1], -v[20:21], v[0:1], v[26:27]
	ds_write_b128 v110, v[16:19]
	ds_write_b128 v10, v[0:3] offset:12672
	ds_read_b128 v[0:3], v109
	ds_read_b128 v[16:19], v10 offset:11968
	s_waitcnt lgkmcnt(0)
	v_add_f64 v[8:9], v[0:1], -v[16:17]
	v_add_f64 v[20:21], v[2:3], v[18:19]
	v_add_f64 v[2:3], v[2:3], -v[18:19]
	v_add_f64 v[0:1], v[0:1], v[16:17]
	v_lshlrev_b64 v[16:17], 4, v[100:101]
	v_mov_b32_e32 v100, v95
	v_mul_f64 v[18:19], v[8:9], 0.5
	v_mul_f64 v[20:21], v[20:21], 0.5
	;; [unrolled: 1-line block ×3, first 2 shown]
	s_waitcnt vmcnt(1)
	v_mul_f64 v[8:9], v[18:19], v[6:7]
	v_fma_f64 v[22:23], v[20:21], v[6:7], v[2:3]
	v_fma_f64 v[6:7], v[20:21], v[6:7], -v[2:3]
	v_fma_f64 v[24:25], v[0:1], 0.5, v[8:9]
	v_fma_f64 v[26:27], v[0:1], 0.5, -v[8:9]
	v_add_co_u32_e64 v0, s[2:3], s8, v16
	v_addc_co_u32_e64 v1, s[2:3], v28, v17, s[2:3]
	global_load_dwordx4 v[0:3], v[0:1], off
	v_fma_f64 v[8:9], -v[4:5], v[18:19], v[22:23]
	v_fma_f64 v[18:19], -v[4:5], v[18:19], v[6:7]
	v_fma_f64 v[6:7], v[20:21], v[4:5], v[24:25]
	v_fma_f64 v[16:17], -v[20:21], v[4:5], v[26:27]
	ds_write_b128 v109, v[6:9]
	ds_write_b128 v10, v[16:19] offset:11968
	ds_read_b128 v[4:7], v115
	ds_read_b128 v[16:19], v10 offset:11264
	s_waitcnt lgkmcnt(0)
	v_add_f64 v[8:9], v[4:5], -v[16:17]
	v_add_f64 v[20:21], v[6:7], v[18:19]
	v_add_f64 v[6:7], v[6:7], -v[18:19]
	v_add_f64 v[4:5], v[4:5], v[16:17]
	v_mul_f64 v[8:9], v[8:9], 0.5
	v_mul_f64 v[18:19], v[20:21], 0.5
	;; [unrolled: 1-line block ×3, first 2 shown]
	v_lshlrev_b64 v[20:21], 4, v[99:100]
	v_mov_b32_e32 v99, v95
	s_waitcnt vmcnt(1)
	v_mul_f64 v[16:17], v[8:9], v[14:15]
	v_fma_f64 v[22:23], v[18:19], v[14:15], v[6:7]
	v_fma_f64 v[14:15], v[18:19], v[14:15], -v[6:7]
	v_fma_f64 v[24:25], v[4:5], 0.5, v[16:17]
	v_fma_f64 v[26:27], v[4:5], 0.5, -v[16:17]
	v_add_co_u32_e64 v4, s[2:3], s8, v20
	v_addc_co_u32_e64 v5, s[2:3], v28, v21, s[2:3]
	global_load_dwordx4 v[4:7], v[4:5], off
	v_fma_f64 v[16:17], -v[12:13], v[8:9], v[22:23]
	v_fma_f64 v[20:21], -v[12:13], v[8:9], v[14:15]
	v_fma_f64 v[14:15], v[18:19], v[12:13], v[24:25]
	v_fma_f64 v[18:19], -v[18:19], v[12:13], v[26:27]
	ds_write_b128 v115, v[14:17]
	ds_write_b128 v10, v[18:21] offset:11264
	ds_read_b128 v[12:15], v114
	ds_read_b128 v[16:19], v10 offset:10560
	s_waitcnt lgkmcnt(0)
	v_add_f64 v[8:9], v[12:13], -v[16:17]
	v_add_f64 v[20:21], v[14:15], v[18:19]
	v_add_f64 v[14:15], v[14:15], -v[18:19]
	v_add_f64 v[12:13], v[12:13], v[16:17]
	v_lshlrev_b64 v[18:19], 4, v[98:99]
	v_mov_b32_e32 v98, v95
	v_mul_f64 v[8:9], v[8:9], 0.5
	v_mul_f64 v[20:21], v[20:21], 0.5
	;; [unrolled: 1-line block ×3, first 2 shown]
	s_waitcnt vmcnt(1)
	v_mul_f64 v[16:17], v[8:9], v[2:3]
	v_fma_f64 v[22:23], v[20:21], v[2:3], v[14:15]
	v_fma_f64 v[2:3], v[20:21], v[2:3], -v[14:15]
	v_fma_f64 v[24:25], v[12:13], 0.5, v[16:17]
	v_fma_f64 v[26:27], v[12:13], 0.5, -v[16:17]
	v_add_co_u32_e64 v12, s[2:3], s8, v18
	v_addc_co_u32_e64 v13, s[2:3], v28, v19, s[2:3]
	global_load_dwordx4 v[12:15], v[12:13], off
	v_fma_f64 v[18:19], -v[0:1], v[8:9], v[22:23]
	v_fma_f64 v[16:17], v[20:21], v[0:1], v[24:25]
	v_fma_f64 v[2:3], -v[0:1], v[8:9], v[2:3]
	v_fma_f64 v[0:1], -v[20:21], v[0:1], v[26:27]
	ds_write_b128 v114, v[16:19]
	ds_write_b128 v10, v[0:3] offset:10560
	ds_read_b128 v[0:3], v113
	ds_read_b128 v[16:19], v10 offset:9856
	s_waitcnt lgkmcnt(0)
	v_add_f64 v[8:9], v[0:1], -v[16:17]
	v_add_f64 v[20:21], v[2:3], v[18:19]
	v_add_f64 v[2:3], v[2:3], -v[18:19]
	v_add_f64 v[0:1], v[0:1], v[16:17]
	v_lshlrev_b64 v[16:17], 4, v[97:98]
	v_mul_f64 v[18:19], v[8:9], 0.5
	v_mul_f64 v[20:21], v[20:21], 0.5
	;; [unrolled: 1-line block ×3, first 2 shown]
	s_waitcnt vmcnt(1)
	v_mul_f64 v[8:9], v[18:19], v[6:7]
	v_fma_f64 v[22:23], v[20:21], v[6:7], v[2:3]
	v_fma_f64 v[6:7], v[20:21], v[6:7], -v[2:3]
	v_fma_f64 v[24:25], v[0:1], 0.5, v[8:9]
	v_fma_f64 v[26:27], v[0:1], 0.5, -v[8:9]
	v_add_co_u32_e64 v0, s[2:3], s8, v16
	v_addc_co_u32_e64 v1, s[2:3], v28, v17, s[2:3]
	global_load_dwordx4 v[0:3], v[0:1], off
	v_fma_f64 v[8:9], -v[4:5], v[18:19], v[22:23]
	v_fma_f64 v[18:19], -v[4:5], v[18:19], v[6:7]
	v_fma_f64 v[6:7], v[20:21], v[4:5], v[24:25]
	v_fma_f64 v[16:17], -v[20:21], v[4:5], v[26:27]
	ds_write_b128 v113, v[6:9]
	ds_write_b128 v10, v[16:19] offset:9856
	ds_read_b128 v[4:7], v11
	ds_read_b128 v[16:19], v10 offset:9152
	s_waitcnt lgkmcnt(0)
	v_add_f64 v[8:9], v[4:5], -v[16:17]
	v_add_f64 v[20:21], v[6:7], v[18:19]
	v_add_f64 v[6:7], v[6:7], -v[18:19]
	v_add_f64 v[4:5], v[4:5], v[16:17]
	v_mul_f64 v[8:9], v[8:9], 0.5
	v_mul_f64 v[18:19], v[20:21], 0.5
	;; [unrolled: 1-line block ×3, first 2 shown]
	s_waitcnt vmcnt(1)
	v_mul_f64 v[16:17], v[8:9], v[14:15]
	v_fma_f64 v[20:21], v[18:19], v[14:15], v[6:7]
	v_fma_f64 v[14:15], v[18:19], v[14:15], -v[6:7]
	v_fma_f64 v[22:23], v[4:5], 0.5, v[16:17]
	v_fma_f64 v[16:17], v[4:5], 0.5, -v[16:17]
	v_fma_f64 v[6:7], -v[12:13], v[8:9], v[20:21]
	v_fma_f64 v[14:15], -v[12:13], v[8:9], v[14:15]
	v_fma_f64 v[4:5], v[18:19], v[12:13], v[22:23]
	v_fma_f64 v[12:13], -v[18:19], v[12:13], v[16:17]
	ds_write_b128 v11, v[4:7]
	ds_write_b128 v10, v[12:15] offset:9152
	ds_read_b128 v[4:7], v116
	ds_read_b128 v[11:14], v10 offset:8448
	s_waitcnt lgkmcnt(0)
	v_add_f64 v[8:9], v[4:5], -v[11:12]
	v_add_f64 v[15:16], v[6:7], v[13:14]
	v_add_f64 v[6:7], v[6:7], -v[13:14]
	v_add_f64 v[4:5], v[4:5], v[11:12]
	v_mul_f64 v[8:9], v[8:9], 0.5
	v_mul_f64 v[13:14], v[15:16], 0.5
	;; [unrolled: 1-line block ×3, first 2 shown]
	s_waitcnt vmcnt(0)
	v_mul_f64 v[11:12], v[8:9], v[2:3]
	v_fma_f64 v[15:16], v[13:14], v[2:3], v[6:7]
	v_fma_f64 v[2:3], v[13:14], v[2:3], -v[6:7]
	v_fma_f64 v[6:7], v[4:5], 0.5, v[11:12]
	v_fma_f64 v[11:12], v[4:5], 0.5, -v[11:12]
	v_fma_f64 v[4:5], -v[0:1], v[8:9], v[15:16]
	v_fma_f64 v[8:9], -v[0:1], v[8:9], v[2:3]
	v_fma_f64 v[2:3], v[13:14], v[0:1], v[6:7]
	v_fma_f64 v[6:7], -v[13:14], v[0:1], v[11:12]
	ds_write_b128 v116, v[2:5]
	ds_write_b128 v10, v[6:9] offset:8448
	s_and_saveexec_b64 s[2:3], vcc
	s_cbranch_execz .LBB0_29
; %bb.28:
	v_mov_b32_e32 v97, v95
	v_lshlrev_b64 v[0:1], 4, v[96:97]
	v_mov_b32_e32 v2, s9
	v_add_co_u32_e32 v0, vcc, s8, v0
	v_addc_co_u32_e32 v1, vcc, v2, v1, vcc
	global_load_dwordx4 v[0:3], v[0:1], off
	ds_read_b128 v[4:7], v106
	ds_read_b128 v[11:14], v10 offset:7744
	s_waitcnt lgkmcnt(0)
	v_add_f64 v[8:9], v[4:5], -v[11:12]
	v_add_f64 v[15:16], v[6:7], v[13:14]
	v_add_f64 v[6:7], v[6:7], -v[13:14]
	v_add_f64 v[4:5], v[4:5], v[11:12]
	v_mul_f64 v[8:9], v[8:9], 0.5
	v_mul_f64 v[13:14], v[15:16], 0.5
	;; [unrolled: 1-line block ×3, first 2 shown]
	s_waitcnt vmcnt(0)
	v_mul_f64 v[11:12], v[8:9], v[2:3]
	v_fma_f64 v[15:16], v[13:14], v[2:3], v[6:7]
	v_fma_f64 v[2:3], v[13:14], v[2:3], -v[6:7]
	v_fma_f64 v[6:7], v[4:5], 0.5, v[11:12]
	v_fma_f64 v[11:12], v[4:5], 0.5, -v[11:12]
	v_fma_f64 v[4:5], -v[0:1], v[8:9], v[15:16]
	v_fma_f64 v[8:9], -v[0:1], v[8:9], v[2:3]
	v_fma_f64 v[2:3], v[13:14], v[0:1], v[6:7]
	v_fma_f64 v[6:7], -v[13:14], v[0:1], v[11:12]
	ds_write_b128 v106, v[2:5]
	ds_write_b128 v10, v[6:9] offset:7744
.LBB0_29:
	s_or_b64 exec, exec, s[2:3]
	s_waitcnt lgkmcnt(0)
	; wave barrier
	s_waitcnt lgkmcnt(0)
	s_and_saveexec_b64 s[2:3], s[0:1]
	s_cbranch_execz .LBB0_32
; %bb.30:
	v_mul_lo_u32 v2, s5, v92
	v_mul_lo_u32 v3, s4, v93
	v_mad_u64_u32 v[0:1], s[0:1], s4, v92, 0
	v_mov_b32_e32 v6, s11
	v_lshl_add_u32 v12, v90, 4, 0
	v_add3_u32 v1, v1, v3, v2
	v_lshlrev_b64 v[0:1], 4, v[0:1]
	v_mov_b32_e32 v91, 0
	v_add_co_u32_e32 v0, vcc, s10, v0
	v_addc_co_u32_e32 v8, vcc, v6, v1, vcc
	v_lshlrev_b64 v[6:7], 4, v[88:89]
	ds_read_b128 v[2:5], v12
	v_add_co_u32_e32 v1, vcc, v0, v6
	v_addc_co_u32_e32 v0, vcc, v8, v7, vcc
	v_lshlrev_b64 v[6:7], 4, v[90:91]
	v_add_co_u32_e32 v10, vcc, v1, v6
	v_addc_co_u32_e32 v11, vcc, v0, v7, vcc
	ds_read_b128 v[6:9], v12 offset:704
	s_waitcnt lgkmcnt(1)
	global_store_dwordx4 v[10:11], v[2:5], off
	s_nop 0
	v_add_u32_e32 v2, 44, v90
	v_mov_b32_e32 v3, v91
	v_lshlrev_b64 v[2:3], 4, v[2:3]
	v_add_co_u32_e32 v2, vcc, v1, v2
	v_addc_co_u32_e32 v3, vcc, v0, v3, vcc
	s_waitcnt lgkmcnt(0)
	global_store_dwordx4 v[2:3], v[6:9], off
	ds_read_b128 v[2:5], v12 offset:1408
	v_add_u32_e32 v6, 0x58, v90
	v_mov_b32_e32 v7, v91
	v_lshlrev_b64 v[6:7], 4, v[6:7]
	v_add_co_u32_e32 v10, vcc, v1, v6
	v_addc_co_u32_e32 v11, vcc, v0, v7, vcc
	ds_read_b128 v[6:9], v12 offset:2112
	s_waitcnt lgkmcnt(1)
	global_store_dwordx4 v[10:11], v[2:5], off
	s_nop 0
	v_add_u32_e32 v2, 0x84, v90
	v_mov_b32_e32 v3, v91
	v_lshlrev_b64 v[2:3], 4, v[2:3]
	v_add_co_u32_e32 v2, vcc, v1, v2
	v_addc_co_u32_e32 v3, vcc, v0, v3, vcc
	s_waitcnt lgkmcnt(0)
	global_store_dwordx4 v[2:3], v[6:9], off
	ds_read_b128 v[2:5], v12 offset:2816
	v_add_u32_e32 v6, 0xb0, v90
	v_mov_b32_e32 v7, v91
	;; [unrolled: 17-line block ×10, first 2 shown]
	v_lshlrev_b64 v[6:7], 4, v[6:7]
	v_add_co_u32_e32 v6, vcc, v1, v6
	v_addc_co_u32_e32 v7, vcc, v0, v7, vcc
	v_cmp_eq_u32_e32 vcc, 43, v90
	s_waitcnt lgkmcnt(0)
	global_store_dwordx4 v[6:7], v[2:5], off
	s_and_b64 exec, exec, vcc
	s_cbranch_execz .LBB0_32
; %bb.31:
	ds_read_b128 v[2:5], v91 offset:14784
	v_add_co_u32_e32 v6, vcc, 0x3000, v1
	v_addc_co_u32_e32 v7, vcc, 0, v0, vcc
	s_waitcnt lgkmcnt(0)
	global_store_dwordx4 v[6:7], v[2:5], off offset:2496
.LBB0_32:
	s_endpgm
	.section	.rodata,"a",@progbits
	.p2align	6, 0x0
	.amdhsa_kernel fft_rtc_fwd_len924_factors_2_2_3_7_11_wgs_44_tpt_44_halfLds_dp_op_CI_CI_unitstride_sbrr_R2C_dirReg
		.amdhsa_group_segment_fixed_size 0
		.amdhsa_private_segment_fixed_size 0
		.amdhsa_kernarg_size 104
		.amdhsa_user_sgpr_count 6
		.amdhsa_user_sgpr_private_segment_buffer 1
		.amdhsa_user_sgpr_dispatch_ptr 0
		.amdhsa_user_sgpr_queue_ptr 0
		.amdhsa_user_sgpr_kernarg_segment_ptr 1
		.amdhsa_user_sgpr_dispatch_id 0
		.amdhsa_user_sgpr_flat_scratch_init 0
		.amdhsa_user_sgpr_private_segment_size 0
		.amdhsa_uses_dynamic_stack 0
		.amdhsa_system_sgpr_private_segment_wavefront_offset 0
		.amdhsa_system_sgpr_workgroup_id_x 1
		.amdhsa_system_sgpr_workgroup_id_y 0
		.amdhsa_system_sgpr_workgroup_id_z 0
		.amdhsa_system_sgpr_workgroup_info 0
		.amdhsa_system_vgpr_workitem_id 0
		.amdhsa_next_free_vgpr 199
		.amdhsa_next_free_sgpr 42
		.amdhsa_reserve_vcc 1
		.amdhsa_reserve_flat_scratch 0
		.amdhsa_float_round_mode_32 0
		.amdhsa_float_round_mode_16_64 0
		.amdhsa_float_denorm_mode_32 3
		.amdhsa_float_denorm_mode_16_64 3
		.amdhsa_dx10_clamp 1
		.amdhsa_ieee_mode 1
		.amdhsa_fp16_overflow 0
		.amdhsa_exception_fp_ieee_invalid_op 0
		.amdhsa_exception_fp_denorm_src 0
		.amdhsa_exception_fp_ieee_div_zero 0
		.amdhsa_exception_fp_ieee_overflow 0
		.amdhsa_exception_fp_ieee_underflow 0
		.amdhsa_exception_fp_ieee_inexact 0
		.amdhsa_exception_int_div_zero 0
	.end_amdhsa_kernel
	.text
.Lfunc_end0:
	.size	fft_rtc_fwd_len924_factors_2_2_3_7_11_wgs_44_tpt_44_halfLds_dp_op_CI_CI_unitstride_sbrr_R2C_dirReg, .Lfunc_end0-fft_rtc_fwd_len924_factors_2_2_3_7_11_wgs_44_tpt_44_halfLds_dp_op_CI_CI_unitstride_sbrr_R2C_dirReg
                                        ; -- End function
	.section	.AMDGPU.csdata,"",@progbits
; Kernel info:
; codeLenInByte = 19172
; NumSgprs: 46
; NumVgprs: 199
; ScratchSize: 0
; MemoryBound: 0
; FloatMode: 240
; IeeeMode: 1
; LDSByteSize: 0 bytes/workgroup (compile time only)
; SGPRBlocks: 5
; VGPRBlocks: 49
; NumSGPRsForWavesPerEU: 46
; NumVGPRsForWavesPerEU: 199
; Occupancy: 1
; WaveLimiterHint : 1
; COMPUTE_PGM_RSRC2:SCRATCH_EN: 0
; COMPUTE_PGM_RSRC2:USER_SGPR: 6
; COMPUTE_PGM_RSRC2:TRAP_HANDLER: 0
; COMPUTE_PGM_RSRC2:TGID_X_EN: 1
; COMPUTE_PGM_RSRC2:TGID_Y_EN: 0
; COMPUTE_PGM_RSRC2:TGID_Z_EN: 0
; COMPUTE_PGM_RSRC2:TIDIG_COMP_CNT: 0
	.type	__hip_cuid_49abab167c6b4815,@object ; @__hip_cuid_49abab167c6b4815
	.section	.bss,"aw",@nobits
	.globl	__hip_cuid_49abab167c6b4815
__hip_cuid_49abab167c6b4815:
	.byte	0                               ; 0x0
	.size	__hip_cuid_49abab167c6b4815, 1

	.ident	"AMD clang version 19.0.0git (https://github.com/RadeonOpenCompute/llvm-project roc-6.4.0 25133 c7fe45cf4b819c5991fe208aaa96edf142730f1d)"
	.section	".note.GNU-stack","",@progbits
	.addrsig
	.addrsig_sym __hip_cuid_49abab167c6b4815
	.amdgpu_metadata
---
amdhsa.kernels:
  - .args:
      - .actual_access:  read_only
        .address_space:  global
        .offset:         0
        .size:           8
        .value_kind:     global_buffer
      - .offset:         8
        .size:           8
        .value_kind:     by_value
      - .actual_access:  read_only
        .address_space:  global
        .offset:         16
        .size:           8
        .value_kind:     global_buffer
      - .actual_access:  read_only
        .address_space:  global
        .offset:         24
        .size:           8
        .value_kind:     global_buffer
      - .actual_access:  read_only
        .address_space:  global
        .offset:         32
        .size:           8
        .value_kind:     global_buffer
      - .offset:         40
        .size:           8
        .value_kind:     by_value
      - .actual_access:  read_only
        .address_space:  global
        .offset:         48
        .size:           8
        .value_kind:     global_buffer
      - .actual_access:  read_only
        .address_space:  global
        .offset:         56
        .size:           8
        .value_kind:     global_buffer
      - .offset:         64
        .size:           4
        .value_kind:     by_value
      - .actual_access:  read_only
        .address_space:  global
        .offset:         72
        .size:           8
        .value_kind:     global_buffer
      - .actual_access:  read_only
        .address_space:  global
        .offset:         80
        .size:           8
        .value_kind:     global_buffer
      - .actual_access:  read_only
        .address_space:  global
        .offset:         88
        .size:           8
        .value_kind:     global_buffer
      - .actual_access:  write_only
        .address_space:  global
        .offset:         96
        .size:           8
        .value_kind:     global_buffer
    .group_segment_fixed_size: 0
    .kernarg_segment_align: 8
    .kernarg_segment_size: 104
    .language:       OpenCL C
    .language_version:
      - 2
      - 0
    .max_flat_workgroup_size: 44
    .name:           fft_rtc_fwd_len924_factors_2_2_3_7_11_wgs_44_tpt_44_halfLds_dp_op_CI_CI_unitstride_sbrr_R2C_dirReg
    .private_segment_fixed_size: 0
    .sgpr_count:     46
    .sgpr_spill_count: 0
    .symbol:         fft_rtc_fwd_len924_factors_2_2_3_7_11_wgs_44_tpt_44_halfLds_dp_op_CI_CI_unitstride_sbrr_R2C_dirReg.kd
    .uniform_work_group_size: 1
    .uses_dynamic_stack: false
    .vgpr_count:     199
    .vgpr_spill_count: 0
    .wavefront_size: 64
amdhsa.target:   amdgcn-amd-amdhsa--gfx906
amdhsa.version:
  - 1
  - 2
...

	.end_amdgpu_metadata
